;; amdgpu-corpus repo=ROCm/rocFFT kind=compiled arch=gfx1201 opt=O3
	.text
	.amdgcn_target "amdgcn-amd-amdhsa--gfx1201"
	.amdhsa_code_object_version 6
	.protected	bluestein_single_back_len1260_dim1_sp_op_CI_CI ; -- Begin function bluestein_single_back_len1260_dim1_sp_op_CI_CI
	.globl	bluestein_single_back_len1260_dim1_sp_op_CI_CI
	.p2align	8
	.type	bluestein_single_back_len1260_dim1_sp_op_CI_CI,@function
bluestein_single_back_len1260_dim1_sp_op_CI_CI: ; @bluestein_single_back_len1260_dim1_sp_op_CI_CI
; %bb.0:
	s_load_b128 s[16:19], s[0:1], 0x28
	v_mul_u32_u24_e32 v1, 0x411, v0
	s_mov_b32 s2, exec_lo
	v_mov_b32_e32 v147, 0
	s_delay_alu instid0(VALU_DEP_2) | instskip(NEXT) | instid1(VALU_DEP_1)
	v_lshrrev_b32_e32 v1, 16, v1
	v_add_nc_u32_e32 v146, ttmp9, v1
	s_wait_kmcnt 0x0
	s_delay_alu instid0(VALU_DEP_1)
	v_cmpx_gt_u64_e64 s[16:17], v[146:147]
	s_cbranch_execz .LBB0_26
; %bb.1:
	s_clause 0x1
	s_load_b128 s[4:7], s[0:1], 0x18
	s_load_b128 s[8:11], s[0:1], 0x0
	v_mul_lo_u16 v1, v1, 63
	s_movk_i32 s2, 0xee48
	s_mov_b32 s3, -1
	s_delay_alu instid0(VALU_DEP_1) | instskip(NEXT) | instid1(VALU_DEP_1)
	v_sub_nc_u16 v0, v0, v1
	v_and_b32_e32 v200, 0xffff, v0
	s_wait_kmcnt 0x0
	s_load_b128 s[12:15], s[4:5], 0x0
	s_wait_kmcnt 0x0
	v_mad_co_u64_u32 v[1:2], null, s14, v146, 0
	v_mad_co_u64_u32 v[3:4], null, s12, v200, 0
	s_mul_u64 s[4:5], s[12:13], 0x13b0
	s_mul_u64 s[2:3], s[12:13], s[2:3]
	s_delay_alu instid0(VALU_DEP_1) | instskip(NEXT) | instid1(VALU_DEP_1)
	v_mad_co_u64_u32 v[5:6], null, s15, v146, v[2:3]
	v_dual_mov_b32 v2, v5 :: v_dual_lshlrev_b32 v199, 3, v200
	s_delay_alu instid0(VALU_DEP_3)
	v_mad_co_u64_u32 v[6:7], null, s13, v200, v[4:5]
	s_clause 0x5
	global_load_b64 v[169:170], v199, s[8:9] offset:5040
	global_load_b64 v[171:172], v199, s[8:9] offset:5544
	global_load_b64 v[175:176], v199, s[8:9]
	global_load_b64 v[173:174], v199, s[8:9] offset:504
	global_load_b64 v[179:180], v199, s[8:9] offset:1008
	;; [unrolled: 1-line block ×3, first 2 shown]
	v_lshlrev_b64_e32 v[1:2], 3, v[1:2]
	s_clause 0x8
	global_load_b64 v[167:168], v199, s[8:9] offset:6048
	global_load_b64 v[163:164], v199, s[8:9] offset:6552
	;; [unrolled: 1-line block ×9, first 2 shown]
	v_mov_b32_e32 v4, v6
	s_clause 0x2
	global_load_b64 v[153:154], v199, s[8:9] offset:8064
	global_load_b64 v[149:150], v199, s[8:9] offset:8568
	;; [unrolled: 1-line block ×3, first 2 shown]
	v_add_co_u32 v1, vcc_lo, s18, v1
	v_add_co_ci_u32_e32 v2, vcc_lo, s19, v2, vcc_lo
	v_lshlrev_b64_e32 v[3:4], 3, v[3:4]
	s_delay_alu instid0(VALU_DEP_1) | instskip(SKIP_1) | instid1(VALU_DEP_2)
	v_add_co_u32 v1, vcc_lo, v1, v3
	s_wait_alu 0xfffd
	v_add_co_ci_u32_e32 v2, vcc_lo, v2, v4, vcc_lo
	s_delay_alu instid0(VALU_DEP_2) | instskip(SKIP_1) | instid1(VALU_DEP_2)
	v_add_co_u32 v3, vcc_lo, v1, s4
	s_wait_alu 0xfffd
	v_add_co_ci_u32_e32 v4, vcc_lo, s5, v2, vcc_lo
	s_delay_alu instid0(VALU_DEP_2) | instskip(SKIP_1) | instid1(VALU_DEP_2)
	;; [unrolled: 4-line block ×4, first 2 shown]
	v_add_co_u32 v9, vcc_lo, v7, s2
	s_wait_alu 0xfffd
	v_add_co_ci_u32_e32 v10, vcc_lo, s3, v8, vcc_lo
	s_clause 0x3
	global_load_b64 v[11:12], v[1:2], off
	global_load_b64 v[3:4], v[3:4], off
	;; [unrolled: 1-line block ×4, first 2 shown]
	v_add_co_u32 v1, vcc_lo, v9, s4
	s_wait_alu 0xfffd
	v_add_co_ci_u32_e32 v2, vcc_lo, s5, v10, vcc_lo
	global_load_b64 v[9:10], v[9:10], off
	v_add_co_u32 v13, vcc_lo, v1, s2
	s_wait_alu 0xfffd
	v_add_co_ci_u32_e32 v14, vcc_lo, s3, v2, vcc_lo
	global_load_b64 v[15:16], v[1:2], off
	;; [unrolled: 4-line block ×13, first 2 shown]
	v_add_co_u32 v37, vcc_lo, v1, s2
	global_load_b64 v[39:40], v[1:2], off
	s_wait_alu 0xfffd
	v_add_co_ci_u32_e32 v38, vcc_lo, s3, v2, vcc_lo
	v_add_co_u32 v1, vcc_lo, v37, s4
	v_add_nc_u32_e32 v64, 0x400, v199
	s_wait_alu 0xfffd
	s_delay_alu instid0(VALU_DEP_3)
	v_add_co_ci_u32_e32 v2, vcc_lo, s5, v38, vcc_lo
	global_load_b64 v[159:160], v199, s[8:9] offset:4536
	global_load_b64 v[37:38], v[37:38], off
	global_load_b64 v[161:162], v199, s[8:9] offset:9576
	global_load_b64 v[41:42], v[1:2], off
	v_add_nc_u32_e32 v63, 0x1800, v199
	v_add_nc_u32_e32 v2, 0x2000, v199
	;; [unrolled: 1-line block ×4, first 2 shown]
	s_load_b128 s[4:7], s[6:7], 0x0
	v_cmp_gt_u16_e32 vcc_lo, 42, v0
	s_wait_loadcnt 0x14
	v_dual_mul_f32 v43, v12, v176 :: v_dual_mul_f32 v46, v3, v170
	s_wait_loadcnt 0x13
	v_dual_mul_f32 v45, v6, v174 :: v_dual_add_nc_u32 v68, 0x1c00, v199
	v_mul_f32_e32 v47, v5, v174
	s_delay_alu instid0(VALU_DEP_3) | instskip(SKIP_1) | instid1(VALU_DEP_4)
	v_fmac_f32_e32 v43, v11, v175
	v_add_co_u32 v79, s2, v200, 63
	v_fmac_f32_e32 v45, v5, v173
	s_wait_alu 0xf1ff
	v_add_co_ci_u32_e64 v1, null, 0, 0, s2
	v_add_co_u32 v242, s2, 0x7e, v200
	s_wait_alu 0xf1ff
	v_add_co_ci_u32_e64 v1, null, 0, 0, s2
	v_add_co_u32 v78, s2, 0xbd, v200
	;; [unrolled: 3-line block ×4, first 2 shown]
	s_wait_alu 0xf1ff
	v_add_co_ci_u32_e64 v1, null, 0, 0, s2
	v_lshlrev_b32_e32 v61, 1, v200
	v_add_nc_u32_e32 v88, 0x237, v200
	v_and_b32_e32 v62, 1, v200
	v_dual_mul_f32 v44, v11, v176 :: v_dual_add_nc_u32 v1, 0x1000, v199
	v_dual_mul_f32 v11, v4, v170 :: v_dual_add_nc_u32 v66, 0xc00, v199
	v_lshlrev_b32_e32 v84, 4, v242
	s_wait_loadcnt 0x11
	v_dual_mul_f32 v5, v10, v180 :: v_dual_lshlrev_b32 v76, 4, v81
	v_fma_f32 v44, v12, v175, -v44
	v_fmac_f32_e32 v11, v3, v169
	v_fma_f32 v12, v4, v169, -v46
	v_mul_f32_e32 v3, v8, v172
	v_mul_f32_e32 v4, v7, v172
	v_fma_f32 v46, v6, v173, -v47
	v_mul_f32_e32 v6, v9, v180
	ds_store_b64 v199, v[11:12] offset:5040
	v_fmac_f32_e32 v3, v7, v171
	v_fma_f32 v4, v8, v171, -v4
	v_fmac_f32_e32 v5, v9, v179
	s_wait_loadcnt 0x10
	v_mul_f32_e32 v7, v16, v168
	s_wait_loadcnt 0xf
	v_dual_mul_f32 v8, v15, v168 :: v_dual_mul_f32 v9, v14, v166
	v_mul_f32_e32 v11, v13, v166
	v_fma_f32 v6, v10, v179, -v6
	v_fmac_f32_e32 v7, v15, v167
	s_delay_alu instid0(VALU_DEP_4)
	v_fma_f32 v8, v16, v167, -v8
	v_fmac_f32_e32 v9, v13, v165
	v_lshlrev_b32_e32 v75, 4, v200
	s_wait_loadcnt 0xe
	v_dual_mul_f32 v12, v19, v164 :: v_dual_lshlrev_b32 v85, 4, v79
	v_lshlrev_b32_e32 v83, 4, v78
	v_lshlrev_b32_e32 v77, 4, v80
	ds_store_2addr_b64 v199, v[43:44], v[45:46] offset1:63
	v_and_b32_e32 v71, 1, v88
	v_add_co_u32 v82, null, 0x17a, v200
	v_fma_f32 v12, v20, v163, -v12
	v_add_nc_u32_e32 v87, 0x1b9, v200
	s_wait_loadcnt 0x5
	v_dual_mul_f32 v13, v34, v148 :: v_dual_lshlrev_b32 v74, 3, v71
	v_and_b32_e32 v73, 1, v81
	s_wait_loadcnt 0x4
	v_dual_mul_f32 v16, v39, v143 :: v_dual_lshlrev_b32 v69, 3, v61
	v_fma_f32 v10, v14, v165, -v11
	v_mul_f32_e32 v11, v20, v164
	v_mul_f32_e32 v14, v33, v148
	ds_store_2addr_b64 v1, v[3:4], v[7:8] offset0:181 offset1:244
	v_mul_f32_e32 v3, v18, v178
	ds_store_2addr_b64 v199, v[5:6], v[9:10] offset0:126 offset1:189
	v_dual_mul_f32 v4, v17, v178 :: v_dual_mul_f32 v5, v24, v152
	v_and_b32_e32 v72, 1, v78
	v_dual_mul_f32 v6, v23, v152 :: v_dual_mul_f32 v7, v22, v158
	v_mul_f32_e32 v8, v21, v158
	s_delay_alu instid0(VALU_DEP_4) | instskip(SKIP_1) | instid1(VALU_DEP_4)
	v_fma_f32 v4, v18, v177, -v4
	v_fmac_f32_e32 v5, v23, v151
	v_fma_f32 v6, v24, v151, -v6
	v_fmac_f32_e32 v7, v21, v157
	v_fma_f32 v8, v22, v157, -v8
	s_wait_loadcnt 0x2
	v_mul_f32_e32 v18, v37, v160
	v_dual_fmac_f32 v3, v17, v177 :: v_dual_lshlrev_b32 v70, 3, v62
	s_wait_loadcnt 0x0
	v_dual_mul_f32 v20, v41, v162 :: v_dual_fmac_f32 v11, v19, v163
	v_lshlrev_b32_e32 v86, 4, v82
	ds_store_2addr_b64 v64, v[3:4], v[7:8] offset0:124 offset1:187
	v_mul_f32_e32 v4, v25, v141
	v_mul_f32_e32 v8, v31, v154
	ds_store_2addr_b64 v63, v[11:12], v[5:6] offset0:51 offset1:114
	v_dual_mul_f32 v12, v29, v145 :: v_dual_mul_f32 v9, v28, v156
	v_dual_mul_f32 v10, v27, v156 :: v_dual_mul_f32 v3, v32, v154
	v_mul_f32_e32 v5, v26, v141
	v_mul_f32_e32 v7, v30, v145
	v_fma_f32 v6, v26, v140, -v4
	v_fma_f32 v4, v32, v153, -v8
	v_mul_f32_e32 v11, v36, v150
	v_fma_f32 v8, v30, v144, -v12
	v_dual_mul_f32 v12, v35, v150 :: v_dual_mul_f32 v15, v40, v143
	v_mul_f32_e32 v17, v38, v160
	v_mul_f32_e32 v19, v42, v162
	v_fmac_f32_e32 v9, v27, v155
	v_fma_f32 v10, v28, v155, -v10
	v_fmac_f32_e32 v3, v31, v153
	v_fmac_f32_e32 v5, v25, v140
	v_fmac_f32_e32 v7, v29, v144
	v_fmac_f32_e32 v11, v35, v149
	v_fma_f32 v12, v36, v149, -v12
	v_fmac_f32_e32 v15, v39, v142
	v_fma_f32 v16, v40, v142, -v16
	v_fmac_f32_e32 v13, v33, v147
	v_fma_f32 v14, v34, v147, -v14
	v_fmac_f32_e32 v17, v37, v159
	v_fma_f32 v18, v38, v159, -v18
	v_fmac_f32_e32 v19, v41, v161
	v_fma_f32 v20, v42, v161, -v20
	ds_store_2addr_b64 v63, v[9:10], v[3:4] offset0:177 offset1:240
	ds_store_2addr_b64 v65, v[5:6], v[7:8] offset0:122 offset1:185
	;; [unrolled: 1-line block ×4, first 2 shown]
	ds_store_b64 v199, v[19:20] offset:9576
	global_wb scope:SCOPE_SE
	s_wait_dscnt 0x0
	s_wait_kmcnt 0x0
	s_barrier_signal -1
	s_barrier_wait -1
	global_inv scope:SCOPE_SE
	ds_load_2addr_b64 v[3:6], v199 offset1:63
	ds_load_2addr_b64 v[7:10], v1 offset0:118 offset1:181
	ds_load_2addr_b64 v[11:14], v199 offset0:126 offset1:189
	;; [unrolled: 1-line block ×9, first 2 shown]
	global_wb scope:SCOPE_SE
	s_wait_dscnt 0x0
	s_barrier_signal -1
	s_barrier_wait -1
	global_inv scope:SCOPE_SE
	s_clause 0x5
	scratch_store_b32 off, v85, off offset:52
	scratch_store_b32 off, v86, off offset:76
	scratch_store_b32 off, v84, off offset:44
	scratch_store_b32 off, v83, off offset:40
	scratch_store_b32 off, v77, off offset:36
	scratch_store_b32 off, v76, off offset:32
	s_load_b64 s[2:3], s[0:1], 0x38
	v_dual_sub_f32 v43, v3, v7 :: v_dual_sub_f32 v44, v4, v8
	v_dual_sub_f32 v7, v5, v9 :: v_dual_sub_f32 v8, v6, v10
	;; [unrolled: 1-line block ×10, first 2 shown]
	v_fma_f32 v41, v3, 2.0, -v43
	v_fma_f32 v42, v4, 2.0, -v44
	;; [unrolled: 1-line block ×20, first 2 shown]
	ds_store_b128 v75, v[41:44]
	ds_store_b128 v85, v[5:8]
	;; [unrolled: 1-line block ×7, first 2 shown]
	ds_store_b128 v75, v[29:32] offset:7056
	ds_store_b128 v69, v[57:60] offset:8064
	;; [unrolled: 1-line block ×3, first 2 shown]
	global_wb scope:SCOPE_SE
	s_wait_storecnt_dscnt 0x0
	s_wait_kmcnt 0x0
	s_barrier_signal -1
	s_barrier_wait -1
	global_inv scope:SCOPE_SE
	global_load_b64 v[128:129], v70, s[10:11]
	v_lshlrev_b32_e32 v3, 3, v72
	v_and_b32_e32 v4, 1, v87
	v_lshlrev_b32_e32 v5, 3, v73
	global_load_b64 v[130:131], v74, s[10:11]
	v_lshlrev_b32_e32 v6, 1, v242
	global_load_b64 v[136:137], v3, s[10:11]
	;; [unrolled: 2-line block ×3, first 2 shown]
	v_lshlrev_b32_e32 v3, 3, v4
	v_lshlrev_b32_e32 v8, 1, v80
	;; [unrolled: 1-line block ×5, first 2 shown]
	global_load_b64 v[132:133], v3, s[10:11]
	v_and_b32_e32 v5, 1, v79
	v_add_nc_u32_e32 v14, 0x3f0, v61
	v_lshlrev_b32_e32 v13, 1, v88
	v_and_or_b32 v10, 0x7c, v61, v62
	s_delay_alu instid0(VALU_DEP_4)
	v_lshlrev_b32_e32 v3, 3, v5
	s_clause 0x1
	global_load_b32 v210, v74, s[10:11] offset:4
	global_load_b32 v198, v3, s[10:11]
	v_lshlrev_b32_e32 v3, 1, v79
	v_and_or_b32 v13, 0x4fc, v13, v71
	scratch_store_b32 off, v14, off offset:104 ; 4-byte Folded Spill
	v_lshlrev_b32_e32 v77, 3, v10
	v_and_or_b32 v3, 0xfc, v3, v5
	v_and_or_b32 v5, 0x1fc, v6, v62
	;; [unrolled: 1-line block ×8, first 2 shown]
	v_lshlrev_b32_e32 v84, 3, v3
	v_lshlrev_b32_e32 v83, 3, v5
	v_lshlrev_b32_e32 v75, 3, v6
	ds_load_2addr_b64 v[3:6], v1 offset0:118 offset1:181
	v_lshlrev_b32_e32 v76, 3, v7
	v_lshlrev_b32_e32 v74, 3, v8
	v_lshlrev_b32_e32 v71, 3, v9
	ds_load_2addr_b64 v[7:10], v67 offset0:116 offset1:179
	v_lshlrev_b32_e32 v70, 3, v11
	v_lshlrev_b32_e32 v69, 3, v12
	v_lshlrev_b32_e32 v67, 3, v13
	ds_load_2addr_b64 v[11:14], v63 offset0:114 offset1:177
	ds_load_2addr_b64 v[15:18], v199 offset1:63
	ds_load_2addr_b64 v[19:22], v199 offset0:126 offset1:189
	ds_load_2addr_b64 v[23:26], v64 offset0:124 offset1:187
	;; [unrolled: 1-line block ×6, first 2 shown]
	global_wb scope:SCOPE_SE
	s_wait_storecnt 0x0
	s_wait_loadcnt_dscnt 0x0
	s_barrier_signal -1
	s_barrier_wait -1
	global_inv scope:SCOPE_SE
	scratch_store_b32 off, v76, off offset:24 ; 4-byte Folded Spill
	v_mul_f32_e32 v43, v4, v129
	v_mul_f32_e32 v44, v3, v129
	;; [unrolled: 1-line block ×3, first 2 shown]
	v_dual_mul_f32 v48, v7, v129 :: v_dual_mul_f32 v45, v6, v131
	v_dual_mul_f32 v46, v5, v131 :: v_dual_mul_f32 v49, v10, v137
	v_mul_f32_e32 v50, v9, v137
	v_mul_f32_e32 v51, v12, v129
	v_dual_mul_f32 v52, v11, v129 :: v_dual_mul_f32 v53, v14, v135
	v_dual_mul_f32 v54, v13, v135 :: v_dual_mul_f32 v55, v28, v129
	v_mul_f32_e32 v56, v27, v129
	v_mul_f32_e32 v57, v30, v133
	;; [unrolled: 1-line block ×5, first 2 shown]
	v_fma_f32 v3, v3, v128, -v43
	v_fmac_f32_e32 v44, v4, v128
	v_fma_f32 v7, v7, v128, -v47
	v_fmac_f32_e32 v48, v8, v128
	v_fma_f32 v9, v9, v136, -v49
	v_mul_f32_e32 v61, v42, v210
	v_mul_f32_e32 v62, v41, v210
	v_fma_f32 v5, v5, v198, -v45
	v_fmac_f32_e32 v46, v6, v198
	v_fmac_f32_e32 v50, v10, v136
	v_fma_f32 v11, v11, v128, -v51
	v_fmac_f32_e32 v52, v12, v128
	v_fma_f32 v13, v13, v134, -v53
	;; [unrolled: 2-line block ×6, first 2 shown]
	v_dual_fmac_f32 v62, v42, v130 :: v_dual_sub_f32 v3, v15, v3
	v_sub_f32_e32 v4, v16, v44
	s_delay_alu instid0(VALU_DEP_4)
	v_dual_sub_f32 v40, v36, v60 :: v_dual_sub_f32 v5, v17, v5
	v_dual_sub_f32 v6, v18, v46 :: v_dual_sub_f32 v7, v19, v7
	;; [unrolled: 1-line block ×9, first 2 shown]
	v_fma_f32 v15, v15, 2.0, -v3
	v_fma_f32 v16, v16, 2.0, -v4
	;; [unrolled: 1-line block ×20, first 2 shown]
	ds_store_2addr_b64 v77, v[15:16], v[3:4] offset1:2
	s_clause 0x1
	scratch_store_b32 off, v84, off offset:56
	scratch_store_b32 off, v83, off offset:48
	ds_store_2addr_b64 v84, v[17:18], v[5:6] offset1:2
	ds_store_2addr_b64 v83, v[19:20], v[7:8] offset1:2
	s_clause 0x1
	scratch_store_b32 off, v75, off offset:20
	scratch_store_b32 off, v77, off offset:28
	ds_store_2addr_b64 v75, v[21:22], v[9:10] offset1:2
	ds_store_2addr_b64 v76, v[23:24], v[11:12] offset1:2
	s_clause 0x4
	scratch_store_b32 off, v74, off offset:16
	scratch_store_b32 off, v71, off offset:12
	;; [unrolled: 1-line block ×4, first 2 shown]
	scratch_store_b32 off, v67, off
	ds_store_2addr_b64 v74, v[25:26], v[13:14] offset1:2
	ds_store_2addr_b64 v71, v[31:32], v[27:28] offset1:2
	;; [unrolled: 1-line block ×5, first 2 shown]
	global_wb scope:SCOPE_SE
	s_wait_storecnt_dscnt 0x0
	s_barrier_signal -1
	s_barrier_wait -1
	global_inv scope:SCOPE_SE
	ds_load_2addr_b64 v[8:11], v199 offset1:63
	ds_load_2addr_b64 v[20:23], v65 offset0:164 offset1:227
	ds_load_2addr_b64 v[28:31], v63 offset0:72 offset1:135
	;; [unrolled: 1-line block ×8, first 2 shown]
                                        ; implicit-def: $vgpr46
	s_and_saveexec_b32 s0, vcc_lo
	s_cbranch_execz .LBB0_3
; %bb.2:
	ds_load_b64 v[72:73], v199 offset:3024
	ds_load_b64 v[44:45], v199 offset:6384
	;; [unrolled: 1-line block ×3, first 2 shown]
.LBB0_3:
	s_wait_alu 0xfffe
	s_or_b32 exec_lo, exec_lo, s0
	v_and_b32_e32 v48, 3, v200
	v_and_b32_e32 v4, 3, v82
	v_lshrrev_b32_e32 v55, 2, v242
	v_lshrrev_b32_e32 v58, 2, v81
	v_lshrrev_b32_e32 v57, 2, v80
	v_lshlrev_b32_e32 v0, 4, v48
	v_lshlrev_b32_e32 v52, 4, v4
	scratch_store_b32 off, v4, off offset:108 ; 4-byte Folded Spill
	v_mul_u32_u24_e32 v55, 12, v55
	v_mul_u32_u24_e32 v58, 12, v58
	global_load_b128 v[0:3], v0, s[10:11] offset:16
	v_and_b32_e32 v49, 3, v81
	v_and_b32_e32 v51, 3, v78
	v_lshrrev_b32_e32 v56, 2, v78
	v_mul_u32_u24_e32 v57, 12, v57
	v_lshrrev_b32_e32 v59, 2, v82
	v_lshlrev_b32_e32 v50, 4, v49
	v_lshlrev_b32_e32 v4, 4, v51
	v_mul_u32_u24_e32 v56, 12, v56
	s_clause 0x5
	global_load_b64 v[187:188], v50, s[10:11] offset:16
	global_load_b64 v[185:186], v50, s[10:11] offset:24
	;; [unrolled: 1-line block ×4, first 2 shown]
	global_load_b128 v[4:7], v4, s[10:11] offset:16
	global_load_b64 v[189:190], v50, s[10:11] offset:20
	v_and_b32_e32 v53, 3, v79
	s_clause 0x1
	global_load_b32 v223, v50, s[10:11] offset:28
	global_load_b64 v[191:192], v52, s[10:11] offset:20
	v_and_b32_e32 v50, 3, v242
	global_load_b32 v222, v52, s[10:11] offset:28
	v_lshlrev_b32_e32 v52, 4, v53
	s_wait_loadcnt_dscnt 0x901
	v_mul_f32_e32 v65, v32, v1
	s_wait_dscnt 0x0
	v_mul_f32_e32 v67, v40, v3
	s_wait_loadcnt 0x4
	v_mul_f32_e32 v63, v38, v7
	v_dual_mul_f32 v61, v26, v5 :: v_dual_lshlrev_b32 v54, 4, v50
	s_clause 0x1
	global_load_b32 v229, v52, s[10:11] offset:16
	global_load_b32 v228, v54, s[10:11] offset:16
	v_lshrrev_b32_e32 v52, 2, v200
	v_or_b32_e32 v50, v55, v50
	v_lshrrev_b32_e32 v54, 2, v79
	scratch_store_b32 off, v59, off offset:112 ; 4-byte Folded Spill
	v_mul_f32_e32 v55, v30, v186
	v_mul_u32_u24_e32 v52, 12, v52
	s_wait_loadcnt 0x5
	v_dual_mul_f32 v69, v34, v189 :: v_dual_lshlrev_b32 v94, 3, v50
	v_mul_f32_e32 v50, v29, v3
	v_or_b32_e32 v49, v58, v49
	v_mul_u32_u24_e32 v54, 12, v54
	v_mul_f32_e32 v58, v37, v182
	v_dual_mul_f32 v59, v36, v182 :: v_dual_mul_f32 v60, v27, v5
	s_wait_loadcnt 0x3
	v_mul_f32_e32 v75, v44, v191
	v_lshlrev_b32_e32 v91, 3, v49
	v_mul_f32_e32 v49, v20, v1
	v_or_b32_e32 v52, v52, v48
	v_or_b32_e32 v48, v57, v48
	v_dual_mul_f32 v57, v24, v184 :: v_dual_mul_f32 v62, v39, v7
	s_wait_loadcnt 0x2
	s_delay_alu instid0(VALU_DEP_3) | instskip(NEXT) | instid1(VALU_DEP_3)
	v_dual_mul_f32 v77, v46, v222 :: v_dual_lshlrev_b32 v96, 3, v52
	v_dual_mul_f32 v71, v42, v223 :: v_dual_lshlrev_b32 v92, 3, v48
	v_mul_f32_e32 v48, v21, v1
	v_or_b32_e32 v51, v56, v51
	v_mul_f32_e32 v52, v23, v188
	v_or_b32_e32 v53, v54, v53
	v_mul_f32_e32 v54, v31, v186
	s_delay_alu instid0(VALU_DEP_4) | instskip(SKIP_1) | instid1(VALU_DEP_4)
	v_dual_mul_f32 v56, v25, v184 :: v_dual_lshlrev_b32 v93, 3, v51
	v_mul_f32_e32 v51, v28, v3
	v_lshlrev_b32_e32 v95, 3, v53
	v_dual_mul_f32 v53, v22, v188 :: v_dual_mul_f32 v64, v33, v1
	v_dual_fmac_f32 v55, v31, v190 :: v_dual_mul_f32 v66, v41, v3
	v_dual_mul_f32 v68, v35, v189 :: v_dual_fmac_f32 v49, v21, v0
	v_dual_mul_f32 v70, v43, v223 :: v_dual_fmac_f32 v51, v29, v2
	;; [unrolled: 1-line block ×3, first 2 shown]
	v_mul_f32_e32 v76, v47, v222
	v_fma_f32 v20, v20, v0, -v48
	v_fma_f32 v21, v28, v2, -v50
	;; [unrolled: 1-line block ×4, first 2 shown]
	v_fmac_f32_e32 v63, v39, v6
	v_fma_f32 v28, v32, v0, -v64
	v_fma_f32 v31, v42, v185, -v70
	v_fmac_f32_e32 v71, v43, v185
	v_fma_f32 v32, v44, v183, -v74
	v_dual_fmac_f32 v77, v47, v181 :: v_dual_add_f32 v38, v49, v51
	global_wb scope:SCOPE_SE
	s_wait_loadcnt 0x0
	s_wait_storecnt 0x0
	s_barrier_signal -1
	s_barrier_wait -1
	global_inv scope:SCOPE_SE
	scratch_store_b32 off, v96, off offset:84 ; 4-byte Folded Spill
	v_dual_add_f32 v85, v72, v32 :: v_dual_sub_f32 v60, v26, v27
	v_fma_f32 v22, v22, v229, -v52
	v_fmac_f32_e32 v53, v23, v229
	v_fma_f32 v23, v30, v190, -v54
	v_fma_f32 v24, v24, v228, -v56
	v_fmac_f32_e32 v57, v25, v228
	v_fma_f32 v25, v36, v192, -v58
	v_fmac_f32_e32 v59, v37, v192
	v_fmac_f32_e32 v65, v33, v0
	v_fma_f32 v29, v40, v2, -v66
	v_fmac_f32_e32 v67, v41, v2
	v_fma_f32 v30, v34, v187, -v68
	v_fmac_f32_e32 v69, v35, v187
	s_delay_alu instid0(VALU_DEP_4)
	v_dual_fmac_f32 v75, v45, v183 :: v_dual_sub_f32 v68, v28, v29
	v_fma_f32 v33, v46, v181, -v76
	v_add_f32_e32 v34, v8, v20
	v_dual_add_f32 v35, v20, v21 :: v_dual_sub_f32 v42, v53, v55
	v_sub_f32_e32 v36, v49, v51
	v_dual_add_f32 v37, v9, v49 :: v_dual_add_f32 v54, v26, v27
	v_dual_sub_f32 v39, v20, v21 :: v_dual_add_f32 v44, v53, v55
	v_dual_add_f32 v40, v10, v22 :: v_dual_add_f32 v43, v11, v53
	v_sub_f32_e32 v48, v57, v59
	v_dual_sub_f32 v45, v22, v23 :: v_dual_add_f32 v86, v32, v33
	v_add_f32_e32 v46, v12, v24
	v_dual_add_f32 v47, v24, v25 :: v_dual_add_f32 v50, v57, v59
	v_add_f32_e32 v49, v13, v57
	v_dual_sub_f32 v52, v24, v25 :: v_dual_add_f32 v41, v22, v23
	v_dual_add_f32 v66, v17, v65 :: v_dual_add_f32 v53, v14, v26
	v_dual_sub_f32 v56, v61, v63 :: v_dual_add_f32 v57, v15, v61
	v_dual_add_f32 v58, v61, v63 :: v_dual_add_f32 v61, v16, v28
	v_sub_f32_e32 v64, v65, v67
	v_dual_add_f32 v62, v28, v29 :: v_dual_add_f32 v65, v65, v67
	v_add_f32_e32 v70, v18, v30
	v_dual_add_f32 v74, v30, v31 :: v_dual_add_f32 v83, v19, v69
	v_sub_f32_e32 v76, v69, v71
	v_dual_add_f32 v69, v69, v71 :: v_dual_sub_f32 v90, v32, v33
	v_dual_add_f32 v88, v73, v75 :: v_dual_add_f32 v89, v75, v77
	v_dual_sub_f32 v84, v30, v31 :: v_dual_sub_f32 v87, v75, v77
	v_fma_f32 v8, -0.5, v35, v8
	v_fma_f32 v9, -0.5, v38, v9
	v_dual_add_f32 v22, v40, v23 :: v_dual_fmac_f32 v11, -0.5, v44
	v_fma_f32 v10, -0.5, v41, v10
	v_dual_add_f32 v23, v43, v55 :: v_dual_add_f32 v24, v46, v25
	v_fma_f32 v12, -0.5, v47, v12
	v_dual_add_f32 v25, v49, v59 :: v_dual_fmac_f32 v72, -0.5, v86
	v_fma_f32 v13, -0.5, v50, v13
	v_dual_add_f32 v26, v53, v27 :: v_dual_fmac_f32 v15, -0.5, v58
	v_fma_f32 v14, -0.5, v54, v14
	v_fma_f32 v16, -0.5, v62, v16
	;; [unrolled: 1-line block ×3, first 2 shown]
	v_dual_add_f32 v30, v70, v31 :: v_dual_fmac_f32 v19, -0.5, v69
	v_fma_f32 v18, -0.5, v74, v18
	v_fmac_f32_e32 v73, -0.5, v89
	v_dual_add_f32 v20, v34, v21 :: v_dual_add_f32 v21, v37, v51
	v_dual_add_f32 v27, v57, v63 :: v_dual_fmamk_f32 v32, v36, 0x3f5db3d7, v8
	v_dual_add_f32 v31, v83, v71 :: v_dual_add_f32 v74, v85, v33
	v_dual_add_f32 v75, v88, v77 :: v_dual_fmac_f32 v8, 0xbf5db3d7, v36
	v_fmamk_f32 v33, v39, 0xbf5db3d7, v9
	v_dual_fmac_f32 v9, 0x3f5db3d7, v39 :: v_dual_fmamk_f32 v36, v48, 0x3f5db3d7, v12
	v_fmamk_f32 v34, v42, 0x3f5db3d7, v10
	v_dual_fmac_f32 v10, 0xbf5db3d7, v42 :: v_dual_fmamk_f32 v35, v45, 0xbf5db3d7, v11
	v_fmac_f32_e32 v12, 0xbf5db3d7, v48
	v_dual_fmac_f32 v11, 0x3f5db3d7, v45 :: v_dual_fmamk_f32 v38, v56, 0x3f5db3d7, v14
	v_dual_fmamk_f32 v37, v52, 0xbf5db3d7, v13 :: v_dual_fmac_f32 v14, 0xbf5db3d7, v56
	v_dual_fmac_f32 v13, 0x3f5db3d7, v52 :: v_dual_fmamk_f32 v40, v64, 0x3f5db3d7, v16
	v_dual_fmamk_f32 v39, v60, 0xbf5db3d7, v15 :: v_dual_fmac_f32 v16, 0xbf5db3d7, v64
	;; [unrolled: 2-line block ×4, first 2 shown]
	v_fmac_f32_e32 v19, 0x3f5db3d7, v84
	v_fmamk_f32 v77, v90, 0xbf5db3d7, v73
	v_dual_fmac_f32 v73, 0x3f5db3d7, v90 :: v_dual_add_f32 v28, v61, v29
	v_add_f32_e32 v29, v66, v67
	ds_store_2addr_b64 v96, v[20:21], v[32:33] offset1:4
	ds_store_b64 v96, v[8:9] offset:64
	ds_store_2addr_b64 v95, v[22:23], v[34:35] offset1:4
	scratch_store_b32 off, v95, off offset:80 ; 4-byte Folded Spill
	ds_store_b64 v95, v[10:11] offset:64
	ds_store_2addr_b64 v94, v[24:25], v[36:37] offset1:4
	scratch_store_b32 off, v94, off offset:72 ; 4-byte Folded Spill
	;; [unrolled: 3-line block ×5, first 2 shown]
	ds_store_b64 v91, v[18:19] offset:64
	s_and_saveexec_b32 s0, vcc_lo
	s_cbranch_execz .LBB0_5
; %bb.4:
	v_lshrrev_b32_e32 v8, 2, v82
	v_and_b32_e32 v9, 3, v82
	s_delay_alu instid0(VALU_DEP_2) | instskip(NEXT) | instid1(VALU_DEP_1)
	v_mul_u32_u24_e32 v8, 12, v8
	v_or_b32_e32 v8, v8, v9
	s_delay_alu instid0(VALU_DEP_1)
	v_lshlrev_b32_e32 v8, 3, v8
	ds_store_2addr_b64 v8, v[74:75], v[76:77] offset1:4
	ds_store_b64 v8, v[72:73] offset:64
.LBB0_5:
	s_wait_alu 0xfffe
	s_or_b32 exec_lo, exec_lo, s0
	v_add_nc_u32_e32 v8, 0x800, v199
	v_add_nc_u32_e32 v9, 0x1800, v199
	global_wb scope:SCOPE_SE
	s_wait_storecnt_dscnt 0x0
	s_barrier_signal -1
	s_barrier_wait -1
	global_inv scope:SCOPE_SE
	ds_load_2addr_b64 v[36:39], v199 offset1:63
	ds_load_2addr_b64 v[60:63], v8 offset0:164 offset1:227
	ds_load_2addr_b64 v[56:59], v9 offset0:72 offset1:135
	v_add_nc_u32_e32 v8, 0x1000, v199
	v_add_nc_u32_e32 v9, 0x1c00, v199
	;; [unrolled: 1-line block ×4, first 2 shown]
	ds_load_2addr_b64 v[40:43], v199 offset0:126 offset1:189
	ds_load_2addr_b64 v[68:71], v8 offset0:34 offset1:97
	;; [unrolled: 1-line block ×6, first 2 shown]
	s_and_saveexec_b32 s0, vcc_lo
	s_cbranch_execz .LBB0_7
; %bb.6:
	ds_load_b64 v[74:75], v199 offset:3024
	ds_load_b64 v[76:77], v199 offset:6384
	;; [unrolled: 1-line block ×3, first 2 shown]
.LBB0_7:
	s_wait_alu 0xfffe
	s_or_b32 exec_lo, exec_lo, s0
	v_and_b32_e32 v8, 0xff, v200
	v_and_b32_e32 v85, 0xff, v79
	;; [unrolled: 1-line block ×3, first 2 shown]
	s_delay_alu instid0(VALU_DEP_3) | instskip(NEXT) | instid1(VALU_DEP_3)
	v_mul_lo_u16 v8, 0xab, v8
	v_mul_lo_u16 v12, 0xab, v85
	s_delay_alu instid0(VALU_DEP_2) | instskip(NEXT) | instid1(VALU_DEP_4)
	v_lshrrev_b16 v86, 11, v8
	v_mul_lo_u16 v8, 0xab, v83
	s_delay_alu instid0(VALU_DEP_3) | instskip(NEXT) | instid1(VALU_DEP_3)
	v_lshrrev_b16 v87, 11, v12
	v_mul_lo_u16 v12, v86, 12
	s_delay_alu instid0(VALU_DEP_3) | instskip(NEXT) | instid1(VALU_DEP_3)
	v_lshrrev_b16 v88, 11, v8
	v_mul_lo_u16 v8, v87, 12
	v_and_b32_e32 v87, 0xffff, v87
	v_mul_lo_u16 v86, v86, 36
	v_sub_nc_u16 v12, v200, v12
	s_delay_alu instid0(VALU_DEP_4) | instskip(NEXT) | instid1(VALU_DEP_4)
	v_sub_nc_u16 v8, v79, v8
	v_mul_u32_u24_e32 v87, 36, v87
	s_delay_alu instid0(VALU_DEP_4) | instskip(NEXT) | instid1(VALU_DEP_4)
	v_and_b32_e32 v86, 0xfc, v86
	v_and_b32_e32 v91, 0xff, v12
	s_delay_alu instid0(VALU_DEP_4) | instskip(NEXT) | instid1(VALU_DEP_2)
	v_and_b32_e32 v93, 0xff, v8
	v_lshlrev_b32_e32 v8, 4, v91
	s_delay_alu instid0(VALU_DEP_2) | instskip(SKIP_2) | instid1(VALU_DEP_1)
	v_add_lshl_u32 v235, v87, v93, 3
	global_load_b128 v[32:35], v8, s[10:11] offset:80
	v_and_b32_e32 v9, 0xffff, v80
	v_mul_u32_u24_e32 v9, 0xaaab, v9
	s_delay_alu instid0(VALU_DEP_1) | instskip(SKIP_2) | instid1(VALU_DEP_2)
	v_lshrrev_b32_e32 v90, 19, v9
	v_mul_lo_u16 v9, v88, 12
	v_and_b32_e32 v88, 0xffff, v88
	v_sub_nc_u16 v9, v242, v9
	s_delay_alu instid0(VALU_DEP_2) | instskip(NEXT) | instid1(VALU_DEP_2)
	v_mul_u32_u24_e32 v88, 36, v88
	v_and_b32_e32 v95, 0xff, v9
	v_lshlrev_b32_e32 v9, 4, v93
	s_delay_alu instid0(VALU_DEP_2)
	v_add_lshl_u32 v234, v88, v95, 3
	global_load_b128 v[28:31], v9, s[10:11] offset:80
	v_and_b32_e32 v84, 0xff, v78
	v_and_b32_e32 v10, 0xffff, v81
	;; [unrolled: 1-line block ×3, first 2 shown]
	v_mul_lo_u16 v8, v90, 12
	s_delay_alu instid0(VALU_DEP_3) | instskip(NEXT) | instid1(VALU_DEP_2)
	v_mul_u32_u24_e32 v10, 0xaaab, v10
	v_sub_nc_u16 v80, v80, v8
	s_delay_alu instid0(VALU_DEP_2) | instskip(NEXT) | instid1(VALU_DEP_2)
	v_lshrrev_b32_e32 v92, 19, v10
	v_lshlrev_b16 v8, 4, v80
	v_mad_u16 v80, v90, 36, v80
	s_delay_alu instid0(VALU_DEP_3) | instskip(NEXT) | instid1(VALU_DEP_3)
	v_mul_lo_u16 v9, v92, 12
	v_and_b32_e32 v8, 0xffff, v8
	s_delay_alu instid0(VALU_DEP_2) | instskip(NEXT) | instid1(VALU_DEP_2)
	v_sub_nc_u16 v81, v81, v9
	v_add_co_u32 v8, s0, s10, v8
	s_delay_alu instid0(VALU_DEP_2)
	v_lshlrev_b16 v9, 4, v81
	v_mad_u16 v81, v92, 36, v81
	s_wait_loadcnt_dscnt 0x7
	v_mul_f32_e32 v87, v63, v29
	v_mul_lo_u16 v13, 0xab, v84
	v_mul_f32_e32 v88, v62, v29
	v_mul_u32_u24_e32 v11, 0xaaab, v11
	s_wait_dscnt 0x6
	v_dual_mul_f32 v90, v58, v31 :: v_dual_and_b32 v81, 0xffff, v81
	v_lshrrev_b16 v89, 11, v13
	v_add_lshl_u32 v236, v86, v91, 3
	v_lshrrev_b32_e32 v94, 19, v11
	s_delay_alu instid0(VALU_DEP_4) | instskip(SKIP_4) | instid1(VALU_DEP_4)
	v_fmac_f32_e32 v90, v59, v30
	v_mul_f32_e32 v86, v56, v35
	v_mul_lo_u16 v10, v89, 12
	v_lshlrev_b32_e32 v102, 3, v81
	v_mul_lo_u16 v11, v94, 12
	v_dual_mul_f32 v81, v60, v33 :: v_dual_fmac_f32 v86, v57, v34
	s_delay_alu instid0(VALU_DEP_4) | instskip(SKIP_1) | instid1(VALU_DEP_4)
	v_sub_nc_u16 v10, v78, v10
	v_dual_fmac_f32 v88, v63, v28 :: v_dual_and_b32 v89, 0xffff, v89
	v_sub_nc_u16 v82, v82, v11
	v_and_b32_e32 v11, 0xffff, v9
	s_delay_alu instid0(VALU_DEP_4)
	v_and_b32_e32 v96, 0xff, v10
	v_lshlrev_b32_e32 v10, 4, v95
	s_wait_alu 0xf1ff
	v_add_co_ci_u32_e64 v9, null, s11, 0, s0
	v_mul_u32_u24_e32 v89, 36, v89
	v_lshlrev_b32_e32 v12, 4, v96
	s_clause 0x1
	global_load_b128 v[24:27], v10, s[10:11] offset:80
	global_load_b128 v[16:19], v[8:9], off offset:80
	v_fma_f32 v62, v62, v28, -v87
	v_fmac_f32_e32 v81, v61, v32
	global_load_b128 v[20:23], v12, s[10:11] offset:80
	v_lshlrev_b16 v10, 4, v82
	v_mad_u16 v82, v94, 36, v82
	s_delay_alu instid0(VALU_DEP_2) | instskip(SKIP_3) | instid1(VALU_DEP_3)
	v_and_b32_e32 v12, 0xffff, v10
	v_add_co_u32 v10, s0, s10, v11
	s_wait_alu 0xf1ff
	v_add_co_ci_u32_e64 v11, null, s11, 0, s0
	v_add_co_u32 v8, s0, s10, v12
	s_wait_alu 0xf1ff
	v_add_co_ci_u32_e64 v9, null, s11, 0, s0
	s_clause 0x1
	global_load_b128 v[12:15], v[10:11], off offset:80
	global_load_b128 v[8:11], v[8:9], off offset:80
	v_and_b32_e32 v80, 0xffff, v80
	scratch_store_b32 off, v82, off offset:88 ; 4-byte Folded Spill
	v_mul_f32_e32 v82, v57, v35
	global_wb scope:SCOPE_SE
	s_wait_storecnt 0x0
	s_wait_loadcnt_dscnt 0x0
	s_barrier_signal -1
	s_barrier_wait -1
	global_inv scope:SCOPE_SE
	v_mul_f32_e32 v91, v69, v25
	v_dual_mul_f32 v92, v68, v25 :: v_dual_mul_f32 v93, v65, v27
	v_add_lshl_u32 v104, v89, v96, 3
	v_mul_f32_e32 v89, v59, v31
	v_dual_mul_f32 v94, v64, v27 :: v_dual_mul_f32 v95, v71, v21
	v_dual_mul_f32 v96, v70, v21 :: v_dual_mul_f32 v97, v67, v23
	v_mul_f32_e32 v98, v66, v23
	s_delay_alu instid0(VALU_DEP_4)
	v_fma_f32 v58, v58, v30, -v89
	v_fma_f32 v59, v68, v24, -v91
	v_fmac_f32_e32 v92, v69, v24
	v_fma_f32 v63, v64, v26, -v93
	v_fma_f32 v64, v70, v20, -v95
	v_fmac_f32_e32 v98, v67, v22
	v_fmac_f32_e32 v94, v65, v26
	v_fma_f32 v65, v66, v22, -v97
	v_mul_f32_e32 v66, v53, v17
	v_mul_f32_e32 v67, v52, v17
	;; [unrolled: 1-line block ×4, first 2 shown]
	v_dual_mul_f32 v80, v61, v33 :: v_dual_lshlrev_b32 v103, 3, v80
	v_fma_f32 v61, v56, v34, -v82
	v_mul_f32_e32 v70, v54, v13
	v_mul_f32_e32 v82, v50, v15
	;; [unrolled: 1-line block ×3, first 2 shown]
	v_fma_f32 v60, v60, v32, -v80
	v_fmac_f32_e32 v96, v71, v20
	v_mul_f32_e32 v68, v49, v19
	v_mul_f32_e32 v71, v51, v15
	;; [unrolled: 1-line block ×4, first 2 shown]
	v_dual_mul_f32 v56, v72, v11 :: v_dual_fmac_f32 v67, v53, v16
	s_delay_alu instid0(VALU_DEP_4)
	v_fma_f32 v93, v50, v14, -v71
	v_dual_add_f32 v53, v37, v81 :: v_dual_fmac_f32 v82, v51, v14
	v_add_f32_e32 v95, v42, v64
	v_add_f32_e32 v50, v36, v60
	;; [unrolled: 1-line block ×3, first 2 shown]
	v_sub_f32_e32 v71, v60, v61
	v_fma_f32 v91, v48, v18, -v68
	v_fma_f32 v68, v54, v12, -v69
	v_fma_f32 v48, v72, v10, -v89
	v_dual_sub_f32 v69, v81, v86 :: v_dual_fmac_f32 v70, v55, v12
	v_add_f32_e32 v55, v38, v62
	v_fma_f32 v66, v52, v16, -v66
	v_add_f32_e32 v89, v92, v94
	v_fmac_f32_e32 v57, v77, v8
	v_fmac_f32_e32 v80, v49, v18
	v_fma_f32 v49, v76, v8, -v87
	v_dual_fmac_f32 v56, v73, v10 :: v_dual_add_f32 v97, v64, v65
	v_dual_add_f32 v54, v81, v86 :: v_dual_sub_f32 v101, v64, v65
	v_dual_add_f32 v73, v39, v88 :: v_dual_add_f32 v76, v88, v90
	v_sub_f32_e32 v77, v62, v58
	v_add_f32_e32 v81, v59, v63
	v_sub_f32_e32 v87, v92, v94
	v_dual_sub_f32 v99, v96, v98 :: v_dual_add_f32 v100, v43, v96
	v_add_f32_e32 v96, v96, v98
	v_sub_f32_e32 v72, v88, v90
	v_add_f32_e32 v88, v41, v92
	v_sub_f32_e32 v92, v59, v63
	v_fma_f32 v52, -0.5, v51, v36
	v_dual_add_f32 v51, v53, v86 :: v_dual_add_f32 v50, v50, v61
	v_fma_f32 v61, -0.5, v89, v41
	v_add_f32_e32 v41, v66, v91
	v_dual_add_f32 v60, v62, v58 :: v_dual_fmac_f32 v39, -0.5, v76
	v_add_f32_e32 v62, v40, v59
	v_fma_f32 v53, -0.5, v54, v37
	v_add_f32_e32 v54, v55, v58
	s_delay_alu instid0(VALU_DEP_4)
	v_fma_f32 v38, -0.5, v60, v38
	v_add_f32_e32 v55, v73, v90
	v_add_f32_e32 v73, v45, v67
	v_dual_add_f32 v58, v62, v63 :: v_dual_add_f32 v63, v100, v98
	v_fma_f32 v60, -0.5, v81, v40
	v_dual_add_f32 v62, v95, v65 :: v_dual_add_f32 v95, v70, v82
	v_fma_f32 v42, -0.5, v97, v42
	v_dual_add_f32 v40, v44, v66 :: v_dual_add_f32 v97, v49, v48
	v_dual_add_f32 v76, v67, v80 :: v_dual_add_f32 v89, v68, v93
	;; [unrolled: 1-line block ×3, first 2 shown]
	v_sub_f32_e32 v81, v67, v80
	v_dual_fmac_f32 v43, -0.5, v96 :: v_dual_sub_f32 v86, v66, v91
	v_sub_f32_e32 v37, v49, v48
	v_dual_add_f32 v88, v46, v68 :: v_dual_fmamk_f32 v65, v71, 0xbf5db3d7, v53
	v_dual_sub_f32 v90, v70, v82 :: v_dual_fmac_f32 v53, 0x3f5db3d7, v71
	v_dual_add_f32 v94, v47, v70 :: v_dual_fmamk_f32 v67, v77, 0xbf5db3d7, v39
	v_sub_f32_e32 v96, v68, v93
	v_dual_sub_f32 v36, v57, v56 :: v_dual_fmac_f32 v39, 0x3f5db3d7, v77
	v_fmamk_f32 v64, v69, 0x3f5db3d7, v52
	v_dual_fmac_f32 v52, 0xbf5db3d7, v69 :: v_dual_fmamk_f32 v71, v101, 0xbf5db3d7, v43
	v_dual_fmamk_f32 v66, v72, 0x3f5db3d7, v38 :: v_dual_add_f32 v73, v73, v80
	v_dual_fmac_f32 v38, 0xbf5db3d7, v72 :: v_dual_add_f32 v77, v94, v82
	v_dual_fmamk_f32 v68, v87, 0x3f5db3d7, v60 :: v_dual_fmac_f32 v47, -0.5, v95
	v_fmamk_f32 v69, v92, 0xbf5db3d7, v61
	v_dual_fmac_f32 v61, 0x3f5db3d7, v92 :: v_dual_add_f32 v72, v40, v91
	v_fma_f32 v44, -0.5, v41, v44
	v_fma_f32 v45, -0.5, v76, v45
	;; [unrolled: 1-line block ×5, first 2 shown]
	v_fmac_f32_e32 v60, 0xbf5db3d7, v87
	v_fmamk_f32 v70, v99, 0x3f5db3d7, v42
	v_dual_fmac_f32 v42, 0xbf5db3d7, v99 :: v_dual_fmamk_f32 v87, v96, 0xbf5db3d7, v47
	v_fmac_f32_e32 v43, 0x3f5db3d7, v101
	v_dual_add_f32 v76, v88, v93 :: v_dual_fmamk_f32 v139, v37, 0x3f5db3d7, v41
	v_fmamk_f32 v80, v81, 0x3f5db3d7, v44
	v_dual_fmac_f32 v44, 0xbf5db3d7, v81 :: v_dual_fmamk_f32 v81, v86, 0xbf5db3d7, v45
	v_dual_fmac_f32 v45, 0x3f5db3d7, v86 :: v_dual_fmamk_f32 v86, v90, 0x3f5db3d7, v46
	v_fmac_f32_e32 v46, 0xbf5db3d7, v90
	v_fmac_f32_e32 v47, 0x3f5db3d7, v96
	v_fmamk_f32 v138, v36, 0xbf5db3d7, v40
	ds_store_2addr_b64 v236, v[50:51], v[64:65] offset1:12
	ds_store_b64 v236, v[52:53] offset:192
	ds_store_2addr_b64 v235, v[54:55], v[66:67] offset1:12
	ds_store_b64 v235, v[38:39] offset:192
	;; [unrolled: 2-line block ×3, first 2 shown]
	ds_store_2addr_b64 v104, v[62:63], v[70:71] offset1:12
	scratch_store_b32 off, v104, off offset:100 ; 4-byte Folded Spill
	ds_store_b64 v104, v[42:43] offset:192
	ds_store_2addr_b64 v103, v[72:73], v[80:81] offset1:12
	scratch_store_b32 off, v103, off offset:96 ; 4-byte Folded Spill
	ds_store_b64 v103, v[44:45] offset:192
	;; [unrolled: 3-line block ×3, first 2 shown]
	s_and_saveexec_b32 s0, vcc_lo
	s_cbranch_execz .LBB0_9
; %bb.8:
	v_dual_add_f32 v38, v75, v57 :: v_dual_mul_f32 v43, 0x3f5db3d7, v36
	scratch_load_b32 v36, off, off offset:88 ; 4-byte Folded Reload
	v_add_f32_e32 v39, v74, v49
	v_dual_mul_f32 v42, 0x3f5db3d7, v37 :: v_dual_add_f32 v37, v38, v56
	v_add_f32_e32 v38, v43, v40
	s_wait_loadcnt 0x0
	v_and_b32_e32 v44, 0xffff, v36
	s_delay_alu instid0(VALU_DEP_3) | instskip(NEXT) | instid1(VALU_DEP_2)
	v_dual_add_f32 v36, v39, v48 :: v_dual_sub_f32 v39, v41, v42
	v_lshlrev_b32_e32 v40, 3, v44
	ds_store_2addr_b64 v40, v[36:37], v[38:39] offset1:12
	ds_store_b64 v40, v[138:139] offset:192
.LBB0_9:
	s_wait_alu 0xfffe
	s_or_b32 exec_lo, exec_lo, s0
	v_mul_lo_u16 v36, v85, 57
	v_add_co_u32 v37, s0, 0xffffffdc, v200
	s_wait_alu 0xf1ff
	v_add_co_ci_u32_e64 v38, null, 0, -1, s0
	s_delay_alu instid0(VALU_DEP_3)
	v_lshrrev_b16 v50, 11, v36
	v_cmp_gt_u16_e64 s0, 36, v200
	global_wb scope:SCOPE_SE
	s_wait_storecnt_dscnt 0x0
	s_barrier_signal -1
	s_barrier_wait -1
	v_mul_lo_u16 v36, v50, 36
	s_wait_alu 0xf1ff
	v_cndmask_b32_e64 v48, v37, v200, s0
	v_cndmask_b32_e64 v49, v38, 0, s0
	global_inv scope:SCOPE_SE
	v_add_co_u32 v195, s1, s8, v199
	v_sub_nc_u16 v38, v79, v36
	v_lshlrev_b64_e32 v[36:37], 5, v[48:49]
	s_wait_alu 0xf1ff
	v_add_co_ci_u32_e64 v196, null, s9, 0, s1
	s_delay_alu instid0(VALU_DEP_3) | instskip(NEXT) | instid1(VALU_DEP_3)
	v_and_b32_e32 v49, 0xff, v38
	v_add_co_u32 v40, s0, s10, v36
	s_wait_alu 0xf1ff
	v_add_co_ci_u32_e64 v41, s0, s11, v37, s0
	s_delay_alu instid0(VALU_DEP_3)
	v_lshlrev_b32_e32 v51, 5, v49
	v_cmp_lt_u16_e64 s0, 35, v200
	s_clause 0x3
	global_load_b128 v[44:47], v[40:41], off offset:272
	global_load_b128 v[36:39], v51, s[10:11] offset:272
	global_load_b128 v[40:43], v[40:41], off offset:288
	global_load_b128 v[52:55], v51, s[10:11] offset:288
	v_add_nc_u32_e32 v51, 0x400, v199
	v_add_nc_u32_e32 v60, 0xc00, v199
	ds_load_2addr_b64 v[56:59], v51 offset0:124 offset1:187
	ds_load_2addr_b64 v[60:63], v60 offset0:120 offset1:183
	s_wait_loadcnt_dscnt 0x301
	v_mul_f32_e32 v86, v56, v45
	s_wait_loadcnt 0x2
	v_mul_f32_e32 v69, v59, v37
	v_dual_mul_f32 v68, v57, v45 :: v_dual_add_nc_u32 v51, 0x1400, v199
	s_wait_dscnt 0x0
	v_dual_mul_f32 v87, v58, v37 :: v_dual_mul_f32 v106, v60, v47
	v_fmac_f32_e32 v86, v57, v44
	ds_load_2addr_b64 v[64:67], v51 offset0:116 offset1:179
	v_fma_f32 v104, v56, v44, -v68
	v_mul_f32_e32 v56, v63, v39
	v_mul_f32_e32 v107, v62, v39
	v_fma_f32 v105, v58, v36, -v69
	v_dual_fmac_f32 v87, v59, v36 :: v_dual_fmac_f32 v106, v61, v46
	v_mul_f32_e32 v70, v61, v47
	v_add_nc_u32_e32 v203, 0x1800, v199
	v_add_nc_u32_e32 v58, 0x1c00, v199
	s_delay_alu instid0(VALU_DEP_3)
	v_fma_f32 v108, v60, v46, -v70
	v_add_nc_u32_e32 v201, 0x800, v199
	s_wait_loadcnt_dscnt 0x100
	v_mul_f32_e32 v57, v65, v41
	v_fma_f32 v109, v62, v38, -v56
	v_dual_mul_f32 v110, v64, v41 :: v_dual_fmac_f32 v107, v63, v38
	s_wait_loadcnt 0x0
	v_mul_f32_e32 v56, v67, v53
	v_fma_f32 v112, v64, v40, -v57
	s_delay_alu instid0(VALU_DEP_3) | instskip(SKIP_1) | instid1(VALU_DEP_4)
	v_dual_mul_f32 v111, v66, v53 :: v_dual_fmac_f32 v110, v65, v40
	v_sub_f32_e32 v62, v86, v106
	v_fma_f32 v113, v66, v52, -v56
	ds_load_2addr_b64 v[56:59], v58 offset0:112 offset1:175
	v_dual_fmac_f32 v111, v67, v52 :: v_dual_sub_f32 v124, v106, v110
	s_wait_dscnt 0x0
	v_dual_sub_f32 v125, v108, v112 :: v_dual_mul_f32 v60, v57, v43
	v_mul_f32_e32 v115, v56, v43
	v_mul_f32_e32 v117, v58, v55
	s_delay_alu instid0(VALU_DEP_3) | instskip(NEXT) | instid1(VALU_DEP_3)
	v_fma_f32 v114, v56, v42, -v60
	v_dual_fmac_f32 v115, v57, v42 :: v_dual_mul_f32 v56, v59, v55
	s_wait_alu 0xf1ff
	v_cndmask_b32_e64 v57, 0, 0xb4, s0
	v_add_f32_e32 v60, v108, v112
	s_delay_alu instid0(VALU_DEP_3) | instskip(SKIP_1) | instid1(VALU_DEP_4)
	v_dual_sub_f32 v63, v115, v110 :: v_dual_add_nc_u32 v202, 0x1000, v199
	v_cmp_gt_u16_e64 s0, 54, v200
	v_add_lshl_u32 v237, v48, v57, 3
	v_sub_f32_e32 v57, v114, v112
	v_fma_f32 v116, v58, v54, -v56
	v_mul_lo_u16 v56, v84, 57
	v_add_f32_e32 v120, v62, v63
	v_add_nc_u32_e32 v204, 0x2000, v199
	v_sub_f32_e32 v122, v86, v115
	s_delay_alu instid0(VALU_DEP_4) | instskip(SKIP_1) | instid1(VALU_DEP_2)
	v_lshrrev_b16 v118, 11, v56
	v_dual_sub_f32 v56, v104, v108 :: v_dual_fmac_f32 v117, v59, v54
	v_mul_lo_u16 v48, v118, 36
	s_delay_alu instid0(VALU_DEP_2) | instskip(SKIP_3) | instid1(VALU_DEP_1)
	v_add_f32_e32 v119, v56, v57
	ds_load_2addr_b64 v[56:59], v199 offset1:63
	v_add_f32_e32 v61, v106, v110
	v_sub_nc_u16 v48, v78, v48
	v_and_b32_e32 v127, 0xff, v48
	s_wait_dscnt 0x0
	v_add_f32_e32 v62, v56, v104
	v_fma_f32 v60, -0.5, v60, v56
	v_fma_f32 v61, -0.5, v61, v57
	s_delay_alu instid0(VALU_DEP_3) | instskip(NEXT) | instid1(VALU_DEP_3)
	v_dual_add_f32 v62, v62, v108 :: v_dual_add_f32 v63, v57, v86
	v_dual_fmamk_f32 v82, v122, 0x3f737871, v60 :: v_dual_sub_f32 v123, v104, v114
	s_delay_alu instid0(VALU_DEP_2) | instskip(NEXT) | instid1(VALU_DEP_1)
	v_dual_add_f32 v62, v62, v112 :: v_dual_add_f32 v63, v63, v106
	v_dual_fmac_f32 v82, 0x3f167918, v124 :: v_dual_add_f32 v63, v63, v110
	s_delay_alu instid0(VALU_DEP_2) | instskip(SKIP_1) | instid1(VALU_DEP_3)
	v_add_f32_e32 v84, v62, v114
	v_mul_lo_u16 v62, v83, 57
	v_add_f32_e32 v85, v63, v115
	s_delay_alu instid0(VALU_DEP_2) | instskip(NEXT) | instid1(VALU_DEP_1)
	v_lshrrev_b16 v121, 11, v62
	v_mul_lo_u16 v62, v121, 36
	s_delay_alu instid0(VALU_DEP_1) | instskip(NEXT) | instid1(VALU_DEP_1)
	v_sub_nc_u16 v62, v242, v62
	v_and_b32_e32 v126, 0xff, v62
	v_dual_fmamk_f32 v83, v123, 0xbf737871, v61 :: v_dual_lshlrev_b32 v62, 5, v127
	s_delay_alu instid0(VALU_DEP_2) | instskip(NEXT) | instid1(VALU_DEP_2)
	v_dual_fmac_f32 v61, 0x3f737871, v123 :: v_dual_lshlrev_b32 v48, 5, v126
	v_fmac_f32_e32 v83, 0xbf167918, v125
	s_clause 0x3
	global_load_b128 v[100:103], v48, s[10:11] offset:272
	global_load_b128 v[96:99], v48, s[10:11] offset:288
	;; [unrolled: 1-line block ×4, first 2 shown]
	v_dual_fmac_f32 v82, 0x3e9e377a, v119 :: v_dual_fmac_f32 v83, 0x3e9e377a, v120
	v_sub_f32_e32 v48, v108, v104
	ds_load_2addr_b64 v[62:65], v199 offset0:126 offset1:189
	ds_load_2addr_b64 v[66:69], v201 offset0:122 offset1:185
	;; [unrolled: 1-line block ×5, first 2 shown]
	global_wb scope:SCOPE_SE
	s_wait_loadcnt_dscnt 0x0
	s_barrier_signal -1
	s_barrier_wait -1
	global_inv scope:SCOPE_SE
	ds_store_2addr_b64 v237, v[84:85], v[82:83] offset1:36
	v_add_f32_e32 v83, v104, v114
	v_dual_sub_f32 v82, v112, v114 :: v_dual_add_f32 v85, v86, v115
	v_dual_sub_f32 v84, v106, v86 :: v_dual_fmac_f32 v61, 0x3f167918, v125
	s_delay_alu instid0(VALU_DEP_3) | instskip(NEXT) | instid1(VALU_DEP_3)
	v_fma_f32 v56, -0.5, v83, v56
	v_fma_f32 v57, -0.5, v85, v57
	s_delay_alu instid0(VALU_DEP_4) | instskip(SKIP_1) | instid1(VALU_DEP_4)
	v_add_f32_e32 v48, v48, v82
	v_sub_f32_e32 v86, v110, v115
	v_fmamk_f32 v82, v124, 0xbf737871, v56
	s_delay_alu instid0(VALU_DEP_4) | instskip(NEXT) | instid1(VALU_DEP_3)
	v_dual_fmac_f32 v56, 0x3f737871, v124 :: v_dual_fmamk_f32 v83, v125, 0x3f737871, v57
	v_dual_fmac_f32 v57, 0xbf737871, v125 :: v_dual_add_f32 v84, v84, v86
	s_delay_alu instid0(VALU_DEP_3) | instskip(NEXT) | instid1(VALU_DEP_3)
	v_fmac_f32_e32 v82, 0x3f167918, v122
	v_dual_fmac_f32 v56, 0xbf167918, v122 :: v_dual_fmac_f32 v83, 0xbf167918, v123
	s_delay_alu instid0(VALU_DEP_3) | instskip(SKIP_1) | instid1(VALU_DEP_4)
	v_fmac_f32_e32 v57, 0x3f167918, v123
	v_fmac_f32_e32 v61, 0x3e9e377a, v120
	;; [unrolled: 1-line block ×3, first 2 shown]
	s_delay_alu instid0(VALU_DEP_4) | instskip(SKIP_3) | instid1(VALU_DEP_3)
	v_fmac_f32_e32 v56, 0x3e9e377a, v48
	v_and_b32_e32 v48, 0xffff, v50
	v_dual_fmac_f32 v57, 0x3e9e377a, v84 :: v_dual_add_f32 v50, v58, v105
	v_sub_f32_e32 v85, v105, v116
	v_mul_u32_u24_e32 v48, 0xb4, v48
	s_delay_alu instid0(VALU_DEP_1) | instskip(SKIP_2) | instid1(VALU_DEP_2)
	v_add_lshl_u32 v238, v48, v49, 3
	v_add_f32_e32 v48, v109, v113
	v_add_f32_e32 v49, v105, v116
	v_fma_f32 v48, -0.5, v48, v58
	s_delay_alu instid0(VALU_DEP_2) | instskip(SKIP_1) | instid1(VALU_DEP_1)
	v_fma_f32 v58, -0.5, v49, v58
	v_dual_sub_f32 v49, v109, v105 :: v_dual_fmac_f32 v60, 0xbf737871, v122
	v_fmac_f32_e32 v60, 0xbf167918, v124
	v_dual_fmac_f32 v83, 0x3e9e377a, v84 :: v_dual_sub_f32 v84, v109, v113
	s_delay_alu instid0(VALU_DEP_2)
	v_fmac_f32_e32 v60, 0x3e9e377a, v119
	ds_store_b64 v237, v[60:61] offset:1152
	v_sub_f32_e32 v61, v111, v117
	ds_store_2addr_b64 v237, v[82:83], v[56:57] offset0:72 offset1:108
	v_sub_f32_e32 v56, v113, v116
	v_add_f32_e32 v60, v59, v87
	v_sub_f32_e32 v82, v107, v111
	v_sub_f32_e32 v83, v87, v117
	s_delay_alu instid0(VALU_DEP_4) | instskip(SKIP_2) | instid1(VALU_DEP_2)
	v_add_f32_e32 v57, v49, v56
	v_add_f32_e32 v49, v107, v111
	;; [unrolled: 1-line block ×3, first 2 shown]
	v_fma_f32 v49, -0.5, v49, v59
	s_delay_alu instid0(VALU_DEP_2) | instskip(NEXT) | instid1(VALU_DEP_1)
	v_dual_fmac_f32 v59, -0.5, v56 :: v_dual_sub_f32 v56, v107, v87
	v_dual_add_f32 v61, v56, v61 :: v_dual_fmamk_f32 v56, v82, 0xbf737871, v58
	v_fmac_f32_e32 v58, 0x3f737871, v82
	s_delay_alu instid0(VALU_DEP_2) | instskip(NEXT) | instid1(VALU_DEP_2)
	v_fmac_f32_e32 v56, 0x3f167918, v83
	v_fmac_f32_e32 v58, 0xbf167918, v83
	s_delay_alu instid0(VALU_DEP_2) | instskip(NEXT) | instid1(VALU_DEP_2)
	v_fmac_f32_e32 v56, 0x3e9e377a, v57
	v_fmac_f32_e32 v58, 0x3e9e377a, v57
	v_fmamk_f32 v57, v84, 0x3f737871, v59
	v_fmac_f32_e32 v59, 0xbf737871, v84
	s_delay_alu instid0(VALU_DEP_2) | instskip(NEXT) | instid1(VALU_DEP_2)
	v_fmac_f32_e32 v57, 0xbf167918, v85
	v_fmac_f32_e32 v59, 0x3f167918, v85
	s_delay_alu instid0(VALU_DEP_2) | instskip(NEXT) | instid1(VALU_DEP_2)
	v_fmac_f32_e32 v57, 0x3e9e377a, v61
	v_fmac_f32_e32 v59, 0x3e9e377a, v61
	ds_store_2addr_b64 v238, v[56:57], v[58:59] offset0:72 offset1:108
	v_dual_sub_f32 v58, v105, v109 :: v_dual_sub_f32 v59, v87, v107
	v_mul_f32_e32 v56, v67, v101
	s_delay_alu instid0(VALU_DEP_1) | instskip(SKIP_2) | instid1(VALU_DEP_2)
	v_fma_f32 v61, v66, v100, -v56
	v_mul_f32_e32 v66, v66, v101
	v_mul_f32_e32 v56, v69, v93
	v_fmac_f32_e32 v66, v67, v100
	s_delay_alu instid0(VALU_DEP_2) | instskip(SKIP_2) | instid1(VALU_DEP_2)
	v_fma_f32 v67, v68, v92, -v56
	v_mul_f32_e32 v68, v68, v93
	v_mul_f32_e32 v56, v71, v103
	v_fmac_f32_e32 v68, v69, v92
	s_delay_alu instid0(VALU_DEP_2) | instskip(SKIP_2) | instid1(VALU_DEP_2)
	;; [unrolled: 5-line block ×3, first 2 shown]
	v_fma_f32 v71, v72, v94, -v56
	v_mul_f32_e32 v72, v72, v95
	v_mul_f32_e32 v56, v75, v97
	v_fmac_f32_e32 v72, v73, v94
	s_delay_alu instid0(VALU_DEP_2) | instskip(SKIP_1) | instid1(VALU_DEP_1)
	v_fma_f32 v73, v74, v96, -v56
	v_mul_f32_e32 v74, v74, v97
	v_fmac_f32_e32 v74, v75, v96
	v_mul_f32_e32 v56, v77, v89
	s_delay_alu instid0(VALU_DEP_1) | instskip(SKIP_2) | instid1(VALU_DEP_2)
	v_fma_f32 v75, v76, v88, -v56
	v_mul_f32_e32 v76, v76, v89
	v_mul_f32_e32 v56, v79, v99
	v_fmac_f32_e32 v76, v77, v88
	s_delay_alu instid0(VALU_DEP_2) | instskip(SKIP_2) | instid1(VALU_DEP_2)
	v_fma_f32 v77, v78, v98, -v56
	v_mul_f32_e32 v78, v78, v99
	v_mul_f32_e32 v56, v81, v91
	v_fmac_f32_e32 v78, v79, v98
	s_delay_alu instid0(VALU_DEP_2) | instskip(SKIP_3) | instid1(VALU_DEP_2)
	v_fma_f32 v79, v80, v90, -v56
	v_add_f32_e32 v56, v60, v107
	v_sub_f32_e32 v60, v116, v113
	v_mul_f32_e32 v80, v80, v91
	v_dual_add_f32 v57, v56, v111 :: v_dual_add_f32 v60, v58, v60
	v_fmamk_f32 v58, v83, 0x3f737871, v48
	s_delay_alu instid0(VALU_DEP_2) | instskip(NEXT) | instid1(VALU_DEP_2)
	v_dual_fmac_f32 v48, 0xbf737871, v83 :: v_dual_add_f32 v57, v57, v117
	v_fmac_f32_e32 v58, 0x3f167918, v82
	s_delay_alu instid0(VALU_DEP_2) | instskip(SKIP_1) | instid1(VALU_DEP_3)
	v_fmac_f32_e32 v48, 0xbf167918, v82
	v_sub_f32_e32 v82, v69, v73
	v_fmac_f32_e32 v58, 0x3e9e377a, v60
	s_delay_alu instid0(VALU_DEP_3) | instskip(SKIP_3) | instid1(VALU_DEP_2)
	v_fmac_f32_e32 v48, 0x3e9e377a, v60
	v_sub_f32_e32 v60, v61, v77
	v_add_f32_e32 v50, v50, v109
	v_fmac_f32_e32 v80, v81, v90
	v_add_f32_e32 v50, v50, v113
	s_delay_alu instid0(VALU_DEP_1) | instskip(SKIP_1) | instid1(VALU_DEP_1)
	v_add_f32_e32 v56, v50, v116
	v_sub_f32_e32 v50, v117, v111
	v_dual_add_f32 v50, v59, v50 :: v_dual_fmamk_f32 v59, v85, 0xbf737871, v49
	v_fmac_f32_e32 v49, 0x3f737871, v85
	s_delay_alu instid0(VALU_DEP_2) | instskip(NEXT) | instid1(VALU_DEP_2)
	v_fmac_f32_e32 v59, 0xbf167918, v84
	v_fmac_f32_e32 v49, 0x3f167918, v84
	s_delay_alu instid0(VALU_DEP_2) | instskip(NEXT) | instid1(VALU_DEP_2)
	v_fmac_f32_e32 v59, 0x3e9e377a, v50
	v_fmac_f32_e32 v49, 0x3e9e377a, v50
	ds_store_2addr_b64 v238, v[56:57], v[58:59] offset1:36
	ds_store_b64 v238, v[48:49] offset:1152
	v_and_b32_e32 v48, 0xffff, v121
	v_sub_f32_e32 v49, v77, v73
	v_sub_f32_e32 v59, v66, v78
	s_delay_alu instid0(VALU_DEP_3) | instskip(NEXT) | instid1(VALU_DEP_1)
	v_mul_u32_u24_e32 v48, 0xb4, v48
	v_add_lshl_u32 v239, v48, v126, 3
	v_sub_f32_e32 v48, v61, v69
	s_delay_alu instid0(VALU_DEP_1) | instskip(SKIP_1) | instid1(VALU_DEP_2)
	v_dual_add_f32 v50, v48, v49 :: v_dual_add_f32 v49, v70, v74
	v_add_f32_e32 v48, v69, v73
	v_fma_f32 v105, -0.5, v49, v63
	s_delay_alu instid0(VALU_DEP_2) | instskip(SKIP_1) | instid1(VALU_DEP_3)
	v_fma_f32 v104, -0.5, v48, v62
	v_sub_f32_e32 v49, v78, v74
	v_dual_fmamk_f32 v57, v60, 0xbf737871, v105 :: v_dual_sub_f32 v48, v66, v70
	s_delay_alu instid0(VALU_DEP_3) | instskip(SKIP_1) | instid1(VALU_DEP_2)
	v_dual_fmac_f32 v105, 0x3f737871, v60 :: v_dual_fmamk_f32 v56, v59, 0x3f737871, v104
	v_dual_sub_f32 v81, v70, v74 :: v_dual_fmac_f32 v104, 0xbf737871, v59
	v_dual_add_f32 v58, v48, v49 :: v_dual_fmac_f32 v105, 0x3f167918, v82
	v_dual_add_f32 v48, v62, v61 :: v_dual_add_f32 v49, v63, v66
	s_delay_alu instid0(VALU_DEP_3) | instskip(NEXT) | instid1(VALU_DEP_4)
	v_fmac_f32_e32 v56, 0x3f167918, v81
	v_fmac_f32_e32 v104, 0xbf167918, v81
	s_delay_alu instid0(VALU_DEP_3) | instskip(NEXT) | instid1(VALU_DEP_4)
	v_dual_fmac_f32 v105, 0x3e9e377a, v58 :: v_dual_add_f32 v48, v48, v69
	v_add_f32_e32 v49, v49, v70
	v_fmac_f32_e32 v57, 0xbf167918, v82
	v_fmac_f32_e32 v56, 0x3e9e377a, v50
	;; [unrolled: 1-line block ×3, first 2 shown]
	s_delay_alu instid0(VALU_DEP_4) | instskip(NEXT) | instid1(VALU_DEP_1)
	v_dual_add_f32 v48, v48, v73 :: v_dual_add_f32 v49, v49, v74
	v_dual_fmac_f32 v57, 0x3e9e377a, v58 :: v_dual_add_f32 v48, v48, v77
	s_delay_alu instid0(VALU_DEP_2)
	v_add_f32_e32 v49, v49, v78
	ds_store_2addr_b64 v239, v[48:49], v[56:57] offset1:36
	v_sub_f32_e32 v48, v69, v61
	v_sub_f32_e32 v49, v73, v77
	v_dual_add_f32 v56, v61, v77 :: v_dual_add_f32 v61, v66, v78
	v_sub_f32_e32 v57, v70, v66
	s_delay_alu instid0(VALU_DEP_3) | instskip(NEXT) | instid1(VALU_DEP_3)
	v_dual_sub_f32 v66, v74, v78 :: v_dual_add_f32 v69, v48, v49
	v_fma_f32 v48, -0.5, v56, v62
	s_delay_alu instid0(VALU_DEP_4) | instskip(SKIP_1) | instid1(VALU_DEP_4)
	v_fma_f32 v49, -0.5, v61, v63
	v_add_f32_e32 v63, v71, v75
	v_dual_add_f32 v61, v57, v66 :: v_dual_sub_f32 v66, v71, v75
	s_delay_alu instid0(VALU_DEP_4) | instskip(NEXT) | instid1(VALU_DEP_4)
	v_fmamk_f32 v56, v81, 0xbf737871, v48
	v_dual_fmac_f32 v48, 0x3f737871, v81 :: v_dual_fmamk_f32 v57, v82, 0x3f737871, v49
	v_dual_fmac_f32 v49, 0xbf737871, v82 :: v_dual_sub_f32 v70, v68, v72
	s_delay_alu instid0(VALU_DEP_3) | instskip(NEXT) | instid1(VALU_DEP_3)
	v_fmac_f32_e32 v56, 0x3f167918, v59
	v_dual_fmac_f32 v48, 0xbf167918, v59 :: v_dual_fmac_f32 v57, 0xbf167918, v60
	s_delay_alu instid0(VALU_DEP_3) | instskip(SKIP_1) | instid1(VALU_DEP_4)
	v_fmac_f32_e32 v49, 0x3f167918, v60
	v_fma_f32 v114, -0.5, v63, v64
	v_fmac_f32_e32 v56, 0x3e9e377a, v69
	s_delay_alu instid0(VALU_DEP_4)
	v_fmac_f32_e32 v48, 0x3e9e377a, v69
	v_fmac_f32_e32 v57, 0x3e9e377a, v61
	;; [unrolled: 1-line block ×3, first 2 shown]
	v_add_f32_e32 v69, v72, v76
	v_sub_f32_e32 v61, v79, v75
	v_dual_sub_f32 v62, v75, v79 :: v_dual_sub_f32 v73, v80, v76
	ds_store_2addr_b64 v239, v[56:57], v[48:49] offset0:72 offset1:108
	v_dual_add_f32 v49, v67, v79 :: v_dual_and_b32 v48, 0xffff, v118
	v_sub_f32_e32 v56, v71, v67
	v_sub_f32_e32 v57, v67, v79
	v_fma_f32 v115, -0.5, v69, v65
	s_delay_alu instid0(VALU_DEP_4) | instskip(NEXT) | instid1(VALU_DEP_2)
	v_mul_u32_u24_e32 v48, 0xb4, v48
	v_dual_sub_f32 v74, v76, v80 :: v_dual_fmamk_f32 v117, v57, 0xbf737871, v115
	s_delay_alu instid0(VALU_DEP_2) | instskip(SKIP_4) | instid1(VALU_DEP_4)
	v_add_lshl_u32 v240, v48, v127, 3
	v_add_f32_e32 v48, v64, v67
	v_fma_f32 v64, -0.5, v49, v64
	v_fmac_f32_e32 v115, 0x3f737871, v57
	v_dual_add_f32 v49, v56, v62 :: v_dual_add_f32 v56, v70, v73
	v_dual_add_f32 v48, v48, v71 :: v_dual_fmac_f32 v117, 0xbf167918, v66
	s_delay_alu instid0(VALU_DEP_1) | instskip(NEXT) | instid1(VALU_DEP_2)
	v_dual_fmac_f32 v115, 0x3f167918, v66 :: v_dual_add_f32 v48, v48, v75
	v_fmac_f32_e32 v117, 0x3e9e377a, v56
	s_delay_alu instid0(VALU_DEP_2) | instskip(SKIP_2) | instid1(VALU_DEP_2)
	v_dual_fmac_f32 v115, 0x3e9e377a, v56 :: v_dual_add_f32 v106, v48, v79
	v_dual_sub_f32 v48, v67, v71 :: v_dual_add_f32 v67, v65, v68
	v_sub_f32_e32 v71, v72, v68
	v_dual_add_f32 v48, v48, v61 :: v_dual_add_f32 v67, v67, v72
	s_delay_alu instid0(VALU_DEP_2) | instskip(NEXT) | instid1(VALU_DEP_2)
	v_add_f32_e32 v59, v71, v74
	v_add_f32_e32 v67, v67, v76
	s_delay_alu instid0(VALU_DEP_1) | instskip(SKIP_3) | instid1(VALU_DEP_3)
	v_add_f32_e32 v107, v67, v80
	v_sub_f32_e32 v67, v72, v76
	v_sub_f32_e32 v72, v68, v80
	v_add_f32_e32 v68, v68, v80
	v_fmamk_f32 v118, v67, 0xbf737871, v64
	s_delay_alu instid0(VALU_DEP_2) | instskip(SKIP_2) | instid1(VALU_DEP_4)
	v_dual_fmamk_f32 v116, v72, 0x3f737871, v114 :: v_dual_fmac_f32 v65, -0.5, v68
	v_fmac_f32_e32 v64, 0x3f737871, v67
	v_fmac_f32_e32 v114, 0xbf737871, v72
	;; [unrolled: 1-line block ×3, first 2 shown]
	s_delay_alu instid0(VALU_DEP_4)
	v_fmac_f32_e32 v116, 0x3f167918, v67
	v_fmamk_f32 v119, v66, 0x3f737871, v65
	v_fmac_f32_e32 v65, 0xbf737871, v66
	v_fmac_f32_e32 v64, 0xbf167918, v72
	v_fmac_f32_e32 v114, 0xbf167918, v67
	v_fmac_f32_e32 v116, 0x3e9e377a, v48
	v_fmac_f32_e32 v119, 0xbf167918, v57
	v_fmac_f32_e32 v65, 0x3f167918, v57
	v_fmac_f32_e32 v118, 0x3e9e377a, v49
	v_fmac_f32_e32 v64, 0x3e9e377a, v49
	s_delay_alu instid0(VALU_DEP_4) | instskip(NEXT) | instid1(VALU_DEP_4)
	v_dual_fmac_f32 v114, 0x3e9e377a, v48 :: v_dual_fmac_f32 v119, 0x3e9e377a, v59
	v_fmac_f32_e32 v65, 0x3e9e377a, v59
	ds_store_b64 v239, v[104:105] offset:1152
	ds_store_2addr_b64 v240, v[106:107], v[116:117] offset1:36
	ds_store_2addr_b64 v240, v[118:119], v[64:65] offset0:72 offset1:108
	ds_store_b64 v240, v[114:115] offset:1152
	global_wb scope:SCOPE_SE
	s_wait_dscnt 0x0
	s_barrier_signal -1
	s_barrier_wait -1
	global_inv scope:SCOPE_SE
	ds_load_2addr_b64 v[72:75], v201 offset0:104 offset1:167
	ds_load_2addr_b64 v[124:127], v202 offset0:28 offset1:91
	;; [unrolled: 1-line block ×5, first 2 shown]
	ds_load_2addr_b64 v[108:111], v199 offset1:63
	ds_load_2addr_b64 v[76:79], v199 offset0:180 offset1:243
	s_and_saveexec_b32 s1, s0
	s_cbranch_execz .LBB0_11
; %bb.10:
	v_add_nc_u32_e32 v56, 0x1a00, v199
	ds_load_2addr_b64 v[112:115], v56 offset0:14 offset1:194
	v_add_nc_u32_e32 v57, 0x200, v199
	v_add_nc_u32_e32 v56, 0xe00, v199
	s_wait_dscnt 0x0
	v_mov_b32_e32 v64, v112
	ds_load_b64 v[138:139], v199 offset:9648
	ds_load_2addr_b64 v[104:107], v57 offset0:62 offset1:242
	ds_load_2addr_b64 v[116:119], v56 offset0:38 offset1:218
	v_mov_b32_e32 v65, v113
.LBB0_11:
	s_wait_alu 0xfffe
	s_or_b32 exec_lo, exec_lo, s1
	v_mad_co_u64_u32 v[66:67], null, v200, 48, s[10:11]
	s_clause 0x1
	global_load_b128 v[56:59], v[66:67], off offset:1424
	global_load_b128 v[80:83], v[66:67], off offset:1440
	s_wait_loadcnt_dscnt 0x100
	v_mul_f32_e32 v68, v77, v57
	v_mul_f32_e32 v204, v72, v59
	s_wait_loadcnt 0x0
	v_mul_f32_e32 v206, v124, v81
	v_mul_f32_e32 v208, v120, v83
	v_fma_f32 v201, v76, v56, -v68
	s_clause 0x1
	global_load_b128 v[68:71], v[66:67], off offset:4448
	global_load_b128 v[84:87], v[66:67], off offset:1456
	v_fmac_f32_e32 v204, v73, v58
	s_wait_loadcnt 0x1
	v_dual_fmac_f32 v206, v125, v80 :: v_dual_mul_f32 v113, v78, v69
	v_mul_f32_e32 v202, v76, v57
	v_mul_f32_e32 v76, v79, v69
	;; [unrolled: 1-line block ×3, first 2 shown]
	s_wait_loadcnt 0x0
	v_mul_f32_e32 v214, v48, v87
	s_delay_alu instid0(VALU_DEP_3) | instskip(SKIP_3) | instid1(VALU_DEP_3)
	v_fma_f32 v112, v78, v68, -v76
	v_dual_mul_f32 v76, v73, v59 :: v_dual_fmac_f32 v113, v79, v68
	v_fmac_f32_e32 v202, v77, v56
	v_fmac_f32_e32 v244, v75, v70
	v_fma_f32 v203, v72, v58, -v76
	v_mul_f32_e32 v72, v75, v71
	s_delay_alu instid0(VALU_DEP_1) | instskip(SKIP_1) | instid1(VALU_DEP_1)
	v_fma_f32 v243, v74, v70, -v72
	v_mul_f32_e32 v72, v125, v81
	v_fma_f32 v205, v124, v80, -v72
	s_clause 0x1
	global_load_b128 v[72:75], v[66:67], off offset:4464
	global_load_b128 v[76:79], v[66:67], off offset:4480
	s_wait_loadcnt 0x1
	v_mul_f32_e32 v66, v127, v73
	v_mul_f32_e32 v125, v126, v73
	s_delay_alu instid0(VALU_DEP_2) | instskip(NEXT) | instid1(VALU_DEP_2)
	v_fma_f32 v124, v126, v72, -v66
	v_dual_mul_f32 v66, v121, v83 :: v_dual_fmac_f32 v125, v127, v72
	s_wait_loadcnt 0x0
	v_mul_f32_e32 v127, v50, v79
	s_delay_alu instid0(VALU_DEP_2) | instskip(SKIP_1) | instid1(VALU_DEP_3)
	v_fma_f32 v207, v120, v82, -v66
	v_mul_f32_e32 v66, v123, v75
	v_fmac_f32_e32 v127, v51, v78
	s_delay_alu instid0(VALU_DEP_3) | instskip(NEXT) | instid1(VALU_DEP_3)
	v_add_f32_e32 v245, v205, v207
	v_fma_f32 v120, v122, v74, -v66
	v_dual_fmac_f32 v208, v121, v82 :: v_dual_mul_f32 v121, v122, v75
	s_delay_alu instid0(VALU_DEP_2) | instskip(NEXT) | instid1(VALU_DEP_2)
	v_dual_add_f32 v230, v113, v127 :: v_dual_add_f32 v253, v124, v120
	v_dual_mul_f32 v212, v60, v85 :: v_dual_fmac_f32 v121, v123, v74
	v_mul_f32_e32 v123, v62, v77
	s_delay_alu instid0(VALU_DEP_1) | instskip(NEXT) | instid1(VALU_DEP_1)
	v_dual_fmac_f32 v123, v63, v76 :: v_dual_fmac_f32 v214, v49, v86
	v_dual_add_f32 v193, v244, v123 :: v_dual_mul_f32 v66, v61, v85
	s_delay_alu instid0(VALU_DEP_2) | instskip(SKIP_1) | instid1(VALU_DEP_3)
	v_dual_add_f32 v247, v202, v214 :: v_dual_add_f32 v194, v125, v121
	v_sub_f32_e32 v202, v202, v214
	v_fma_f32 v211, v60, v84, -v66
	v_mul_f32_e32 v60, v63, v77
	s_delay_alu instid0(VALU_DEP_1) | instskip(SKIP_1) | instid1(VALU_DEP_1)
	v_fma_f32 v122, v62, v76, -v60
	v_mul_f32_e32 v60, v49, v87
	v_fma_f32 v213, v48, v86, -v60
	v_mul_f32_e32 v48, v51, v79
	s_delay_alu instid0(VALU_DEP_1) | instskip(SKIP_1) | instid1(VALU_DEP_2)
	v_fma_f32 v126, v50, v78, -v48
	v_subrev_nc_u32_e32 v48, 54, v200
	v_dual_fmac_f32 v212, v61, v84 :: v_dual_add_f32 v251, v112, v126
	s_delay_alu instid0(VALU_DEP_2) | instskip(NEXT) | instid1(VALU_DEP_2)
	v_cndmask_b32_e64 v48, v48, v242, s0
	v_add_f32_e32 v248, v204, v212
	s_delay_alu instid0(VALU_DEP_2) | instskip(SKIP_1) | instid1(VALU_DEP_2)
	v_mul_i32_i24_e32 v49, 48, v48
	v_mul_hi_i32_i24_e32 v48, 48, v48
	v_add_co_u32 v66, s1, s10, v49
	s_wait_alu 0xf1ff
	s_delay_alu instid0(VALU_DEP_2)
	v_add_co_ci_u32_e64 v67, s1, s11, v48, s1
	s_clause 0x1
	global_load_b128 v[48:51], v[66:67], off offset:1424
	global_load_b128 v[60:63], v[66:67], off offset:1440
	s_wait_loadcnt 0x1
	v_mul_f32_e32 v215, v117, v51
	v_mul_f32_e32 v216, v116, v51
	s_wait_loadcnt 0x0
	v_mul_f32_e32 v225, v64, v63
	v_mul_f32_e32 v221, v106, v49
	;; [unrolled: 1-line block ×3, first 2 shown]
	v_fma_f32 v215, v116, v50, -v215
	s_delay_alu instid0(VALU_DEP_4) | instskip(NEXT) | instid1(VALU_DEP_4)
	v_dual_mul_f32 v116, v119, v61 :: v_dual_fmac_f32 v225, v65, v62
	v_fmac_f32_e32 v221, v107, v48
	v_add_f32_e32 v249, v206, v208
	s_delay_alu instid0(VALU_DEP_3) | instskip(SKIP_1) | instid1(VALU_DEP_1)
	v_fma_f32 v217, v118, v60, -v116
	v_mul_f32_e32 v116, v65, v63
	v_fma_f32 v224, v64, v62, -v116
	global_load_b128 v[64:67], v[66:67], off offset:1456
	v_dual_add_f32 v242, v203, v211 :: v_dual_add_f32 v209, v217, v224
	s_wait_loadcnt 0x0
	v_dual_mul_f32 v219, v138, v67 :: v_dual_mul_f32 v116, v115, v65
	v_mul_f32_e32 v227, v114, v65
	s_delay_alu instid0(VALU_DEP_2) | instskip(SKIP_1) | instid1(VALU_DEP_4)
	v_fmac_f32_e32 v219, v139, v66
	v_dual_fmac_f32 v218, v119, v60 :: v_dual_add_f32 v119, v201, v213
	v_fma_f32 v226, v114, v64, -v116
	v_dual_add_f32 v252, v243, v122 :: v_dual_sub_f32 v201, v201, v213
	v_fmac_f32_e32 v216, v117, v50
	s_delay_alu instid0(VALU_DEP_4) | instskip(NEXT) | instid1(VALU_DEP_1)
	v_dual_add_f32 v114, v242, v119 :: v_dual_fmac_f32 v227, v115, v64
	v_add_f32_e32 v246, v245, v114
	v_add_f32_e32 v114, v248, v247
	s_delay_alu instid0(VALU_DEP_1) | instskip(SKIP_1) | instid1(VALU_DEP_2)
	v_add_f32_e32 v250, v249, v114
	v_add_f32_e32 v114, v252, v251
	;; [unrolled: 1-line block ×3, first 2 shown]
	s_delay_alu instid0(VALU_DEP_2) | instskip(SKIP_2) | instid1(VALU_DEP_3)
	v_add_f32_e32 v241, v253, v114
	v_dual_add_f32 v114, v193, v230 :: v_dual_mul_f32 v109, v107, v49
	v_sub_f32_e32 v107, v204, v212
	v_dual_sub_f32 v204, v208, v206 :: v_dual_add_f32 v117, v110, v241
	s_delay_alu instid0(VALU_DEP_3) | instskip(NEXT) | instid1(VALU_DEP_4)
	v_add_f32_e32 v197, v194, v114
	v_fma_f32 v220, v106, v48, -v109
	v_add_f32_e32 v110, v215, v226
	v_dual_add_f32 v114, v216, v227 :: v_dual_sub_f32 v213, v107, v202
	s_delay_alu instid0(VALU_DEP_4) | instskip(SKIP_3) | instid1(VALU_DEP_2)
	v_dual_add_f32 v118, v111, v197 :: v_dual_add_f32 v111, v221, v219
	v_add_f32_e32 v255, v218, v225
	v_dual_add_f32 v115, v108, v246 :: v_dual_mul_f32 v108, v139, v67
	v_sub_f32_e32 v206, v245, v242
	v_fmamk_f32 v246, v246, 0xbf955555, v115
	s_delay_alu instid0(VALU_DEP_3) | instskip(NEXT) | instid1(VALU_DEP_1)
	v_fma_f32 v108, v138, v66, -v108
	v_add_f32_e32 v109, v220, v108
	s_delay_alu instid0(VALU_DEP_1) | instskip(NEXT) | instid1(VALU_DEP_1)
	v_add_f32_e32 v106, v110, v109
	v_add_f32_e32 v254, v209, v106
	v_add_f32_e32 v106, v114, v111
	s_delay_alu instid0(VALU_DEP_1)
	v_add_f32_e32 v231, v255, v106
	v_sub_f32_e32 v106, v203, v211
	v_sub_f32_e32 v203, v207, v205
	;; [unrolled: 1-line block ×4, first 2 shown]
	v_add_f32_e32 v105, v105, v231
	s_delay_alu instid0(VALU_DEP_4)
	v_dual_sub_f32 v208, v249, v248 :: v_dual_sub_f32 v139, v203, v106
	v_dual_sub_f32 v207, v248, v247 :: v_dual_add_f32 v138, v203, v106
	v_sub_f32_e32 v211, v106, v201
	v_mul_f32_e32 v119, 0x3f4a47b2, v119
	v_add_f32_e32 v106, v204, v107
	v_sub_f32_e32 v212, v204, v107
	v_mul_f32_e32 v248, 0xbf08b237, v139
	v_dual_mul_f32 v107, 0x3d64c772, v208 :: v_dual_add_f32 v214, v138, v201
	v_fmamk_f32 v250, v250, 0xbf955555, v116
	s_delay_alu instid0(VALU_DEP_4) | instskip(NEXT) | instid1(VALU_DEP_4)
	v_mul_f32_e32 v212, 0xbf08b237, v212
	v_fma_f32 v139, 0x3f5ff5aa, v211, -v248
	s_delay_alu instid0(VALU_DEP_4) | instskip(NEXT) | instid1(VALU_DEP_3)
	v_fma_f32 v107, 0x3f3bfb3b, v207, -v107
	v_fma_f32 v138, 0x3f5ff5aa, v213, -v212
	s_delay_alu instid0(VALU_DEP_3) | instskip(NEXT) | instid1(VALU_DEP_3)
	v_fmac_f32_e32 v139, 0x3ee1c552, v214
	v_add_f32_e32 v233, v107, v250
	s_delay_alu instid0(VALU_DEP_1)
	v_dual_add_f32 v107, v139, v233 :: v_dual_add_f32 v104, v104, v254
	v_sub_f32_e32 v139, v233, v139
	v_sub_f32_e32 v233, v201, v203
	v_mul_f32_e32 v201, 0x3f5ff5aa, v211
	v_sub_f32_e32 v245, v202, v204
	v_add_f32_e32 v242, v106, v202
	v_mul_f32_e32 v106, 0x3d64c772, v206
	v_mul_f32_e32 v202, 0x3f5ff5aa, v213
	v_fmamk_f32 v213, v233, 0x3eae86e6, v248
	v_fma_f32 v204, 0xbeae86e6, v233, -v201
	v_fmac_f32_e32 v138, 0x3ee1c552, v242
	v_fma_f32 v106, 0x3f3bfb3b, v205, -v106
	v_fma_f32 v203, 0xbeae86e6, v245, -v202
	;; [unrolled: 1-line block ×3, first 2 shown]
	v_fmac_f32_e32 v204, 0x3ee1c552, v214
	v_fmac_f32_e32 v213, 0x3ee1c552, v214
	v_add_f32_e32 v232, v106, v246
	s_delay_alu instid0(VALU_DEP_4) | instskip(NEXT) | instid1(VALU_DEP_2)
	v_add_f32_e32 v205, v201, v246
	v_sub_f32_e32 v106, v232, v138
	v_add_f32_e32 v138, v138, v232
	v_sub_f32_e32 v232, v247, v249
	s_delay_alu instid0(VALU_DEP_1) | instskip(NEXT) | instid1(VALU_DEP_1)
	v_mul_f32_e32 v211, 0x3f4a47b2, v232
	v_fma_f32 v202, 0xbf3bfb3b, v207, -v211
	s_delay_alu instid0(VALU_DEP_1) | instskip(NEXT) | instid1(VALU_DEP_1)
	v_add_f32_e32 v207, v202, v250
	v_sub_f32_e32 v202, v207, v204
	v_dual_add_f32 v204, v204, v207 :: v_dual_fmamk_f32 v207, v245, 0x3eae86e6, v212
	v_fmac_f32_e32 v203, 0x3ee1c552, v242
	s_delay_alu instid0(VALU_DEP_2) | instskip(NEXT) | instid1(VALU_DEP_2)
	v_fmac_f32_e32 v207, 0x3ee1c552, v242
	v_add_f32_e32 v201, v203, v205
	v_sub_f32_e32 v203, v205, v203
	v_fmamk_f32 v119, v206, 0x3d64c772, v119
	v_fmamk_f32 v205, v208, 0x3d64c772, v211
	s_delay_alu instid0(VALU_DEP_2) | instskip(NEXT) | instid1(VALU_DEP_1)
	v_add_f32_e32 v119, v119, v246
	v_dual_add_f32 v208, v205, v250 :: v_dual_add_f32 v205, v207, v119
	s_delay_alu instid0(VALU_DEP_1)
	v_dual_sub_f32 v206, v208, v213 :: v_dual_sub_f32 v207, v119, v207
	v_add_f32_e32 v208, v213, v208
	ds_store_b64 v199, v[205:206] offset:1440
	ds_store_b64 v199, v[201:202] offset:2880
	ds_store_b64 v199, v[106:107] offset:4320
	ds_store_b64 v199, v[138:139] offset:5760
	ds_store_b64 v199, v[203:204] offset:7200
	ds_store_b64 v199, v[207:208] offset:8640
	ds_store_2addr_b64 v199, v[115:116], v[117:118] offset1:63
	v_fmamk_f32 v119, v241, 0xbf955555, v117
	v_dual_fmamk_f32 v138, v197, 0xbf955555, v118 :: v_dual_sub_f32 v107, v244, v123
	v_sub_f32_e32 v123, v194, v193
	v_dual_sub_f32 v118, v121, v125 :: v_dual_sub_f32 v117, v120, v124
	v_dual_sub_f32 v115, v112, v126 :: v_dual_sub_f32 v116, v113, v127
	v_sub_f32_e32 v121, v253, v252
	s_delay_alu instid0(VALU_DEP_3) | instskip(SKIP_2) | instid1(VALU_DEP_3)
	v_dual_sub_f32 v125, v118, v107 :: v_dual_sub_f32 v106, v243, v122
	v_sub_f32_e32 v194, v230, v194
	v_sub_f32_e32 v243, v255, v114
	v_dual_mul_f32 v125, 0xbf08b237, v125 :: v_dual_add_f32 v112, v117, v106
	v_dual_sub_f32 v113, v117, v106 :: v_dual_sub_f32 v124, v106, v115
	s_delay_alu instid0(VALU_DEP_2) | instskip(NEXT) | instid1(VALU_DEP_2)
	v_dual_add_f32 v127, v112, v115 :: v_dual_sub_f32 v122, v193, v230
	v_mul_f32_e32 v193, 0xbf08b237, v113
	s_delay_alu instid0(VALU_DEP_1) | instskip(NEXT) | instid1(VALU_DEP_1)
	v_fma_f32 v113, 0x3f5ff5aa, v124, -v193
	v_fmac_f32_e32 v113, 0x3ee1c552, v127
	v_add_f32_e32 v106, v118, v107
	s_delay_alu instid0(VALU_DEP_1) | instskip(SKIP_3) | instid1(VALU_DEP_3)
	v_add_f32_e32 v139, v106, v116
	v_dual_sub_f32 v126, v107, v116 :: v_dual_mul_f32 v107, 0x3d64c772, v123
	v_mul_f32_e32 v106, 0x3d64c772, v121
	v_sub_f32_e32 v202, v116, v118
	v_mul_f32_e32 v116, 0x3f5ff5aa, v126
	s_delay_alu instid0(VALU_DEP_4) | instskip(SKIP_1) | instid1(VALU_DEP_1)
	v_fma_f32 v107, 0x3f3bfb3b, v122, -v107
	v_sub_f32_e32 v120, v252, v251
	v_fma_f32 v106, 0x3f3bfb3b, v120, -v106
	s_delay_alu instid0(VALU_DEP_1) | instskip(NEXT) | instid1(VALU_DEP_4)
	v_add_f32_e32 v197, v106, v119
	v_add_f32_e32 v201, v107, v138
	s_delay_alu instid0(VALU_DEP_1) | instskip(SKIP_4) | instid1(VALU_DEP_2)
	v_add_f32_e32 v107, v113, v201
	v_sub_f32_e32 v113, v201, v113
	v_sub_f32_e32 v201, v115, v117
	v_fma_f32 v117, 0xbeae86e6, v202, -v116
	v_mul_f32_e32 v115, 0x3f5ff5aa, v124
	v_fmac_f32_e32 v117, 0x3ee1c552, v139
	v_fma_f32 v112, 0x3f5ff5aa, v126, -v125
	s_delay_alu instid0(VALU_DEP_3) | instskip(SKIP_1) | instid1(VALU_DEP_3)
	v_fma_f32 v118, 0xbeae86e6, v201, -v115
	v_mul_f32_e32 v126, 0x3f4a47b2, v194
	v_fmac_f32_e32 v112, 0x3ee1c552, v139
	s_delay_alu instid0(VALU_DEP_3) | instskip(NEXT) | instid1(VALU_DEP_2)
	v_fmac_f32_e32 v118, 0x3ee1c552, v127
	v_sub_f32_e32 v106, v197, v112
	v_add_f32_e32 v112, v112, v197
	v_sub_f32_e32 v197, v251, v253
	s_delay_alu instid0(VALU_DEP_1) | instskip(NEXT) | instid1(VALU_DEP_1)
	v_mul_f32_e32 v124, 0x3f4a47b2, v197
	v_fma_f32 v115, 0xbf3bfb3b, v120, -v124
	s_delay_alu instid0(VALU_DEP_1) | instskip(NEXT) | instid1(VALU_DEP_1)
	v_add_f32_e32 v120, v115, v119
	v_add_f32_e32 v115, v117, v120
	v_dual_sub_f32 v117, v120, v117 :: v_dual_fmamk_f32 v120, v121, 0x3d64c772, v124
	v_fmamk_f32 v121, v123, 0x3d64c772, v126
	v_fmamk_f32 v125, v202, 0x3eae86e6, v125
	s_delay_alu instid0(VALU_DEP_2) | instskip(NEXT) | instid1(VALU_DEP_2)
	v_dual_add_f32 v123, v120, v119 :: v_dual_add_f32 v124, v121, v138
	v_fmac_f32_e32 v125, 0x3ee1c552, v139
	s_delay_alu instid0(VALU_DEP_1) | instskip(SKIP_3) | instid1(VALU_DEP_3)
	v_sub_f32_e32 v121, v123, v125
	v_fma_f32 v116, 0xbf3bfb3b, v122, -v126
	v_add_f32_e32 v119, v125, v123
	v_sub_f32_e32 v123, v215, v226
	v_add_f32_e32 v122, v116, v138
	s_delay_alu instid0(VALU_DEP_1) | instskip(SKIP_2) | instid1(VALU_DEP_1)
	v_sub_f32_e32 v116, v122, v118
	v_add_f32_e32 v118, v118, v122
	v_fmamk_f32 v122, v201, 0x3eae86e6, v193
	v_fmac_f32_e32 v122, 0x3ee1c552, v127
	s_delay_alu instid0(VALU_DEP_1)
	v_sub_f32_e32 v120, v124, v122
	v_add_f32_e32 v122, v122, v124
	ds_store_b64 v199, v[119:120] offset:1944
	ds_store_b64 v199, v[115:116] offset:3384
	;; [unrolled: 1-line block ×6, first 2 shown]
	v_sub_f32_e32 v119, v216, v227
	v_dual_sub_f32 v107, v225, v218 :: v_dual_sub_f32 v112, v111, v255
	v_sub_f32_e32 v116, v221, v219
	v_dual_sub_f32 v122, v220, v108 :: v_dual_fmamk_f32 v117, v254, 0xbf955555, v104
	s_delay_alu instid0(VALU_DEP_3) | instskip(SKIP_3) | instid1(VALU_DEP_4)
	v_add_f32_e32 v115, v107, v119
	v_sub_f32_e32 v121, v107, v119
	v_mul_f32_e32 v127, 0x3f4a47b2, v112
	v_dual_sub_f32 v107, v116, v107 :: v_dual_sub_f32 v242, v209, v110
	v_add_f32_e32 v139, v115, v116
	v_fmamk_f32 v120, v231, 0xbf955555, v105
	s_delay_alu instid0(VALU_DEP_3) | instskip(SKIP_1) | instid1(VALU_DEP_1)
	v_mul_f32_e32 v124, 0x3eae86e6, v107
	v_sub_f32_e32 v106, v224, v217
	v_add_f32_e32 v113, v106, v123
	s_delay_alu instid0(VALU_DEP_1) | instskip(NEXT) | instid1(VALU_DEP_4)
	v_add_f32_e32 v244, v113, v122
	v_fmamk_f32 v113, v121, 0xbf08b237, v124
	v_dual_sub_f32 v108, v109, v209 :: v_dual_sub_f32 v125, v106, v123
	s_delay_alu instid0(VALU_DEP_2) | instskip(NEXT) | instid1(VALU_DEP_2)
	v_dual_fmac_f32 v113, 0x3ee1c552, v139 :: v_dual_sub_f32 v106, v122, v106
	v_mul_f32_e32 v126, 0x3f4a47b2, v108
	s_delay_alu instid0(VALU_DEP_2) | instskip(NEXT) | instid1(VALU_DEP_2)
	v_mul_f32_e32 v138, 0x3eae86e6, v106
	v_fmamk_f32 v106, v242, 0x3d64c772, v126
	s_delay_alu instid0(VALU_DEP_1) | instskip(SKIP_1) | instid1(VALU_DEP_2)
	v_dual_fmamk_f32 v112, v125, 0xbf08b237, v138 :: v_dual_add_f32 v115, v106, v117
	v_fmamk_f32 v106, v243, 0x3d64c772, v127
	v_dual_fmac_f32 v112, 0x3ee1c552, v244 :: v_dual_sub_f32 v193, v115, v113
	s_delay_alu instid0(VALU_DEP_2) | instskip(SKIP_1) | instid1(VALU_DEP_2)
	v_add_f32_e32 v118, v106, v120
	v_add_nc_u32_e32 v106, 0x1b9, v200
	v_add_f32_e32 v194, v112, v118
	s_delay_alu instid0(VALU_DEP_2) | instskip(SKIP_4) | instid1(VALU_DEP_1)
	v_lshlrev_b32_e32 v108, 4, v106
	scratch_load_b32 v106, off, off offset:104 th:TH_LOAD_LU ; 4-byte Folded Reload
	s_wait_loadcnt 0x0
	v_lshlrev_b32_e32 v107, 3, v106
	v_add_nc_u32_e32 v106, 0x237, v200
	v_lshlrev_b32_e32 v106, 4, v106
	s_and_saveexec_b32 s1, s0
	s_cbranch_execz .LBB0_13
; %bb.12:
	v_dual_mul_f32 v197, 0x3d64c772, v242 :: v_dual_sub_f32 v116, v119, v116
	v_dual_mul_f32 v201, 0x3d64c772, v243 :: v_dual_sub_f32 v122, v123, v122
	;; [unrolled: 1-line block ×3, first 2 shown]
	v_dual_sub_f32 v109, v110, v109 :: v_dual_mul_f32 v110, 0x3ee1c552, v139
	s_delay_alu instid0(VALU_DEP_3)
	v_fma_f32 v123, 0xbf5ff5aa, v122, -v138
	v_mul_f32_e32 v114, 0xbf08b237, v125
	v_fma_f32 v124, 0xbf5ff5aa, v116, -v124
	v_mul_f32_e32 v119, 0xbf08b237, v121
	v_fma_f32 v125, 0xbf3bfb3b, v111, -v127
	v_fma_f32 v126, 0xbf3bfb3b, v109, -v126
	v_add_f32_e32 v121, v202, v123
	v_add_f32_e32 v124, v110, v124
	v_fma_f32 v111, 0x3f3bfb3b, v111, -v201
	v_fma_f32 v114, 0x3f5ff5aa, v122, -v114
	v_fma_f32 v116, 0x3f5ff5aa, v116, -v119
	v_fma_f32 v109, 0x3f3bfb3b, v109, -v197
	v_add_f32_e32 v123, v125, v120
	s_delay_alu instid0(VALU_DEP_4) | instskip(SKIP_1) | instid1(VALU_DEP_4)
	v_dual_add_f32 v111, v111, v120 :: v_dual_add_f32 v114, v202, v114
	v_add_f32_e32 v125, v126, v117
	v_dual_add_f32 v119, v110, v116 :: v_dual_add_f32 v122, v109, v117
	s_delay_alu instid0(VALU_DEP_3) | instskip(NEXT) | instid1(VALU_DEP_3)
	v_dual_add_f32 v110, v121, v123 :: v_dual_sub_f32 v117, v111, v114
	v_dual_add_f32 v120, v114, v111 :: v_dual_sub_f32 v109, v125, v124
	s_delay_alu instid0(VALU_DEP_3)
	v_dual_add_f32 v116, v119, v122 :: v_dual_sub_f32 v119, v122, v119
	v_sub_f32_e32 v122, v123, v121
	v_dual_add_f32 v121, v124, v125 :: v_dual_sub_f32 v112, v118, v112
	v_add_f32_e32 v111, v113, v115
	v_add_nc_u32_e32 v113, 0x200, v199
	v_add_nc_u32_e32 v114, 0xe00, v199
	;; [unrolled: 1-line block ×3, first 2 shown]
	ds_store_2addr_b64 v113, v[104:105], v[111:112] offset0:62 offset1:242
	ds_store_2addr_b64 v114, v[121:122], v[119:120] offset0:38 offset1:218
	;; [unrolled: 1-line block ×3, first 2 shown]
	ds_store_b64 v199, v[193:194] offset:9648
.LBB0_13:
	s_wait_alu 0xfffe
	s_or_b32 exec_lo, exec_lo, s1
	global_wb scope:SCOPE_SE
	s_wait_dscnt 0x0
	s_barrier_signal -1
	s_barrier_wait -1
	global_inv scope:SCOPE_SE
	global_load_b64 v[104:105], v[195:196], off offset:10080
	v_lshlrev_b32_e32 v127, 3, v200
	s_add_nc_u64 s[8:9], s[8:9], 0x2760
	s_clause 0x2
	global_load_b64 v[113:114], v127, s[8:9] offset:504
	global_load_b64 v[117:118], v127, s[8:9] offset:1008
	;; [unrolled: 1-line block ×3, first 2 shown]
	ds_load_2addr_b64 v[109:112], v199 offset1:63
	v_add_nc_u32_e32 v197, 0x1400, v199
	s_wait_loadcnt_dscnt 0x300
	v_dual_mul_f32 v116, v109, v105 :: v_dual_add_nc_u32 v209, 0xc00, v199
	v_mul_f32_e32 v115, v110, v105
	s_delay_alu instid0(VALU_DEP_2) | instskip(NEXT) | instid1(VALU_DEP_2)
	v_fmac_f32_e32 v116, v110, v104
	v_fma_f32 v115, v109, v104, -v115
	s_wait_loadcnt 0x2
	v_mul_f32_e32 v104, v112, v114
	ds_store_b64 v199, v[115:116]
	v_fma_f32 v109, v111, v113, -v104
	s_clause 0x2
	global_load_b64 v[104:105], v127, s[8:9] offset:5040
	global_load_b64 v[121:122], v127, s[8:9] offset:5544
	;; [unrolled: 1-line block ×3, first 2 shown]
	v_mul_f32_e32 v110, v111, v114
	s_delay_alu instid0(VALU_DEP_1)
	v_fmac_f32_e32 v110, v112, v113
	v_add_nc_u32_e32 v112, 0x1000, v199
	ds_load_2addr_b64 v[113:116], v112 offset0:118 offset1:181
	s_wait_loadcnt_dscnt 0x200
	v_mul_f32_e32 v111, v114, v105
	s_wait_loadcnt 0x1
	v_dual_mul_f32 v126, v113, v105 :: v_dual_mul_f32 v139, v115, v122
	s_delay_alu instid0(VALU_DEP_2) | instskip(NEXT) | instid1(VALU_DEP_2)
	v_fma_f32 v125, v113, v104, -v111
	v_fmac_f32_e32 v126, v114, v104
	v_mul_f32_e32 v104, v116, v122
	s_delay_alu instid0(VALU_DEP_4) | instskip(NEXT) | instid1(VALU_DEP_2)
	v_fmac_f32_e32 v139, v116, v121
	v_fma_f32 v138, v115, v121, -v104
	ds_load_2addr_b64 v[113:116], v199 offset0:126 offset1:189
	s_wait_dscnt 0x0
	v_mul_f32_e32 v104, v114, v118
	v_mul_f32_e32 v122, v113, v118
	;; [unrolled: 1-line block ×3, first 2 shown]
	s_delay_alu instid0(VALU_DEP_3) | instskip(SKIP_1) | instid1(VALU_DEP_4)
	v_fma_f32 v121, v113, v117, -v104
	v_mul_f32_e32 v104, v116, v120
	v_fmac_f32_e32 v122, v114, v117
	s_delay_alu instid0(VALU_DEP_4) | instskip(NEXT) | instid1(VALU_DEP_3)
	v_fmac_f32_e32 v196, v116, v119
	v_fma_f32 v195, v115, v119, -v104
	s_clause 0x3
	global_load_b64 v[104:105], v127, s[8:9] offset:6048
	global_load_b64 v[117:118], v127, s[8:9] offset:6552
	;; [unrolled: 1-line block ×4, first 2 shown]
	ds_load_2addr_b64 v[113:116], v197 offset0:116 offset1:179
	s_wait_loadcnt_dscnt 0x300
	v_mul_f32_e32 v111, v114, v105
	v_mul_f32_e32 v204, v113, v105
	s_wait_loadcnt 0x2
	v_mul_f32_e32 v206, v115, v118
	s_delay_alu instid0(VALU_DEP_3) | instskip(NEXT) | instid1(VALU_DEP_3)
	v_fma_f32 v203, v113, v104, -v111
	v_fmac_f32_e32 v204, v114, v104
	v_mul_f32_e32 v104, v116, v118
	s_delay_alu instid0(VALU_DEP_4) | instskip(NEXT) | instid1(VALU_DEP_2)
	v_fmac_f32_e32 v206, v116, v117
	v_fma_f32 v205, v115, v117, -v104
	s_clause 0x3
	global_load_b64 v[117:118], v127, s[8:9] offset:2016
	global_load_b64 v[207:208], v127, s[8:9] offset:2520
	;; [unrolled: 1-line block ×4, first 2 shown]
	v_add_nc_u32_e32 v104, 0x400, v199
	ds_load_2addr_b64 v[113:116], v104 offset0:124 offset1:187
	s_wait_loadcnt_dscnt 0x300
	v_mul_f32_e32 v105, v114, v118
	v_mul_f32_e32 v216, v113, v118
	s_wait_loadcnt 0x2
	v_mul_f32_e32 v218, v115, v208
	s_delay_alu instid0(VALU_DEP_3) | instskip(NEXT) | instid1(VALU_DEP_3)
	v_fma_f32 v215, v113, v117, -v105
	v_dual_mul_f32 v105, v116, v208 :: v_dual_fmac_f32 v216, v114, v117
	s_delay_alu instid0(VALU_DEP_3) | instskip(NEXT) | instid1(VALU_DEP_2)
	v_fmac_f32_e32 v218, v116, v207
	v_fma_f32 v217, v115, v207, -v105
	v_add_nc_u32_e32 v105, 0x1800, v199
	ds_load_2addr_b64 v[113:116], v105 offset0:114 offset1:177
	s_wait_dscnt 0x0
	v_mul_f32_e32 v111, v114, v120
	v_dual_mul_f32 v208, v113, v120 :: v_dual_mul_f32 v225, v115, v202
	s_delay_alu instid0(VALU_DEP_2) | instskip(NEXT) | instid1(VALU_DEP_2)
	v_fma_f32 v207, v113, v119, -v111
	v_dual_fmac_f32 v208, v114, v119 :: v_dual_mul_f32 v111, v116, v202
	s_delay_alu instid0(VALU_DEP_3) | instskip(SKIP_1) | instid1(VALU_DEP_3)
	v_dual_fmac_f32 v225, v116, v201 :: v_dual_add_nc_u32 v114, 0x800, v199
	v_add_nc_u32_e32 v113, 0x1c00, v199
	v_fma_f32 v224, v115, v201, -v111
	ds_load_2addr_b64 v[115:118], v114 offset0:122 offset1:185
	s_wait_loadcnt_dscnt 0x100
	v_mul_f32_e32 v111, v116, v212
	v_mul_f32_e32 v202, v115, v212
	s_wait_loadcnt 0x0
	v_mul_f32_e32 v212, v117, v214
	s_delay_alu instid0(VALU_DEP_3) | instskip(NEXT) | instid1(VALU_DEP_3)
	v_fma_f32 v201, v115, v211, -v111
	v_dual_mul_f32 v111, v118, v214 :: v_dual_fmac_f32 v202, v116, v211
	s_delay_alu instid0(VALU_DEP_3) | instskip(NEXT) | instid1(VALU_DEP_2)
	v_fmac_f32_e32 v212, v118, v213
	v_fma_f32 v211, v117, v213, -v111
	s_clause 0x3
	global_load_b64 v[119:120], v127, s[8:9] offset:8064
	global_load_b64 v[213:214], v127, s[8:9] offset:8568
	;; [unrolled: 1-line block ×4, first 2 shown]
	ds_load_2addr_b64 v[115:118], v113 offset0:112 offset1:175
	s_wait_loadcnt_dscnt 0x300
	v_mul_f32_e32 v111, v116, v120
	v_mul_f32_e32 v244, v115, v120
	s_wait_loadcnt 0x2
	v_mul_f32_e32 v246, v117, v214
	s_delay_alu instid0(VALU_DEP_3) | instskip(NEXT) | instid1(VALU_DEP_3)
	v_fma_f32 v243, v115, v119, -v111
	v_fmac_f32_e32 v244, v116, v119
	global_load_b64 v[119:120], v127, s[8:9] offset:4032
	v_mul_f32_e32 v111, v118, v214
	v_fmac_f32_e32 v246, v118, v213
	s_delay_alu instid0(VALU_DEP_2) | instskip(SKIP_4) | instid1(VALU_DEP_1)
	v_fma_f32 v245, v117, v213, -v111
	ds_load_2addr_b64 v[115:118], v209 offset0:120 offset1:183
	s_wait_dscnt 0x0
	v_mul_f32_e32 v248, v117, v124
	s_wait_loadcnt 0x0
	v_dual_fmac_f32 v248, v118, v123 :: v_dual_mul_f32 v111, v116, v120
	v_mul_f32_e32 v214, v115, v120
	s_delay_alu instid0(VALU_DEP_2) | instskip(SKIP_2) | instid1(VALU_DEP_4)
	v_fma_f32 v213, v115, v119, -v111
	v_mul_f32_e32 v111, v118, v124
	v_add_nc_u32_e32 v115, 0x2000, v199
	v_fmac_f32_e32 v214, v116, v119
	s_delay_alu instid0(VALU_DEP_3) | instskip(SKIP_4) | instid1(VALU_DEP_2)
	v_fma_f32 v247, v117, v123, -v111
	ds_load_2addr_b64 v[116:119], v115 offset0:110 offset1:173
	s_wait_dscnt 0x0
	v_mul_f32_e32 v111, v117, v227
	v_mul_f32_e32 v124, v116, v227
	v_fma_f32 v123, v116, v226, -v111
	s_delay_alu instid0(VALU_DEP_2) | instskip(SKIP_2) | instid1(VALU_DEP_2)
	v_fmac_f32_e32 v124, v117, v226
	v_mul_f32_e32 v111, v119, v242
	v_mul_f32_e32 v117, v118, v242
	v_fma_f32 v116, v118, v241, -v111
	s_delay_alu instid0(VALU_DEP_2)
	v_fmac_f32_e32 v117, v119, v241
	ds_store_2addr_b64 v199, v[109:110], v[121:122] offset0:63 offset1:126
	ds_store_2addr_b64 v112, v[138:139], v[203:204] offset0:181 offset1:244
	;; [unrolled: 1-line block ×9, first 2 shown]
	ds_store_b64 v199, v[116:117] offset:9576
	global_wb scope:SCOPE_SE
	s_wait_dscnt 0x0
	s_barrier_signal -1
	s_barrier_wait -1
	global_inv scope:SCOPE_SE
	ds_load_2addr_b64 v[116:119], v199 offset1:63
	ds_load_2addr_b64 v[120:123], v112 offset0:118 offset1:181
	v_lshlrev_b32_e32 v109, 4, v200
	s_wait_dscnt 0x0
	v_dual_sub_f32 v126, v116, v120 :: v_dual_sub_f32 v127, v117, v121
	ds_load_2addr_b64 v[241:244], v199 offset0:126 offset1:189
	ds_load_2addr_b64 v[245:248], v197 offset0:116 offset1:179
	;; [unrolled: 1-line block ×8, first 2 shown]
	global_wb scope:SCOPE_SE
	s_wait_dscnt 0x0
	s_barrier_signal -1
	v_fma_f32 v124, v116, 2.0, -v126
	v_fma_f32 v125, v117, 2.0, -v127
	s_barrier_wait -1
	global_inv scope:SCOPE_SE
	v_dual_sub_f32 v120, v118, v122 :: v_dual_sub_f32 v121, v119, v123
	ds_store_b128 v109, v[124:127]
	scratch_load_b32 v109, off, off offset:52 th:TH_LOAD_LU ; 4-byte Folded Reload
	v_fma_f32 v118, v118, 2.0, -v120
	v_fma_f32 v119, v119, 2.0, -v121
	v_dual_sub_f32 v110, v215, v224 :: v_dual_sub_f32 v111, v216, v225
	s_wait_loadcnt 0x0
	ds_store_b128 v109, v[118:121]
	scratch_load_b32 v109, off, off offset:44 th:TH_LOAD_LU ; 4-byte Folded Reload
	v_dual_sub_f32 v118, v241, v245 :: v_dual_sub_f32 v119, v242, v246
	s_delay_alu instid0(VALU_DEP_1) | instskip(NEXT) | instid1(VALU_DEP_2)
	v_fma_f32 v116, v241, 2.0, -v118
	v_fma_f32 v117, v242, 2.0, -v119
	s_wait_loadcnt 0x0
	ds_store_b128 v109, v[116:119]
	scratch_load_b32 v109, off, off offset:40 th:TH_LOAD_LU ; 4-byte Folded Reload
	v_dual_sub_f32 v118, v243, v247 :: v_dual_sub_f32 v119, v244, v248
	s_delay_alu instid0(VALU_DEP_1) | instskip(NEXT) | instid1(VALU_DEP_2)
	v_fma_f32 v116, v243, 2.0, -v118
	v_fma_f32 v117, v244, 2.0, -v119
	;; [unrolled: 7-line block ×5, first 2 shown]
	s_wait_loadcnt 0x0
	ds_store_b128 v109, v[116:119]
	v_dual_sub_f32 v118, v207, v213 :: v_dual_sub_f32 v119, v208, v214
	v_fma_f32 v109, v216, 2.0, -v111
	s_delay_alu instid0(VALU_DEP_2) | instskip(NEXT) | instid1(VALU_DEP_3)
	v_fma_f32 v116, v207, 2.0, -v118
	v_fma_f32 v117, v208, 2.0, -v119
	ds_store_b128 v108, v[116:119]
	v_dual_sub_f32 v118, v217, v226 :: v_dual_sub_f32 v119, v218, v227
	v_fma_f32 v108, v215, 2.0, -v110
	s_delay_alu instid0(VALU_DEP_2) | instskip(NEXT) | instid1(VALU_DEP_3)
	v_fma_f32 v116, v217, 2.0, -v118
	v_fma_f32 v117, v218, 2.0, -v119
	ds_store_b128 v107, v[108:111]
	ds_store_b128 v106, v[116:119]
	global_wb scope:SCOPE_SE
	s_wait_dscnt 0x0
	s_barrier_signal -1
	s_barrier_wait -1
	global_inv scope:SCOPE_SE
	ds_load_2addr_b64 v[106:109], v197 offset0:116 offset1:179
	ds_load_2addr_b64 v[116:119], v105 offset0:114 offset1:177
	s_wait_dscnt 0x1
	v_mul_f32_e32 v138, v137, v109
	v_mul_f32_e32 v110, v137, v108
	v_mul_f32_e32 v137, v129, v107
	v_mul_f32_e32 v111, v129, v106
	s_wait_dscnt 0x0
	v_dual_mul_f32 v195, v135, v119 :: v_dual_fmac_f32 v138, v136, v108
	v_fma_f32 v136, v136, v109, -v110
	v_fmac_f32_e32 v137, v128, v106
	v_fma_f32 v139, v128, v107, -v111
	ds_load_2addr_b64 v[106:109], v113 offset0:112 offset1:175
	v_mul_f32_e32 v110, v135, v118
	v_fmac_f32_e32 v195, v134, v118
	v_mul_f32_e32 v135, v129, v117
	s_delay_alu instid0(VALU_DEP_3) | instskip(SKIP_1) | instid1(VALU_DEP_3)
	v_fma_f32 v134, v134, v119, -v110
	v_mul_f32_e32 v110, v129, v116
	v_fmac_f32_e32 v135, v128, v116
	s_delay_alu instid0(VALU_DEP_2) | instskip(SKIP_4) | instid1(VALU_DEP_3)
	v_fma_f32 v197, v128, v117, -v110
	s_wait_dscnt 0x0
	v_mul_f32_e32 v196, v133, v109
	v_mul_f32_e32 v110, v133, v108
	;; [unrolled: 1-line block ×3, first 2 shown]
	v_dual_mul_f32 v111, v129, v106 :: v_dual_fmac_f32 v196, v132, v108
	s_delay_alu instid0(VALU_DEP_3) | instskip(NEXT) | instid1(VALU_DEP_3)
	v_fma_f32 v201, v132, v109, -v110
	v_fmac_f32_e32 v133, v128, v106
	s_delay_alu instid0(VALU_DEP_3) | instskip(SKIP_4) | instid1(VALU_DEP_2)
	v_fma_f32 v132, v128, v107, -v111
	ds_load_2addr_b64 v[106:109], v115 offset0:110 offset1:173
	s_wait_dscnt 0x0
	v_mul_f32_e32 v202, v129, v107
	v_dual_mul_f32 v110, v129, v106 :: v_dual_mul_f32 v203, v210, v109
	v_dual_mul_f32 v111, v210, v108 :: v_dual_fmac_f32 v202, v128, v106
	s_delay_alu instid0(VALU_DEP_2) | instskip(NEXT) | instid1(VALU_DEP_3)
	v_fma_f32 v204, v128, v107, -v110
	v_fmac_f32_e32 v203, v130, v108
	s_delay_alu instid0(VALU_DEP_3) | instskip(SKIP_4) | instid1(VALU_DEP_2)
	v_fma_f32 v205, v130, v109, -v111
	ds_load_2addr_b64 v[106:109], v112 offset0:118 offset1:181
	s_wait_dscnt 0x0
	v_mul_f32_e32 v110, v129, v107
	v_mul_f32_e32 v206, v131, v109
	v_fmac_f32_e32 v110, v128, v106
	v_mul_f32_e32 v106, v129, v106
	s_delay_alu instid0(VALU_DEP_3) | instskip(NEXT) | instid1(VALU_DEP_2)
	v_fmac_f32_e32 v206, v198, v108
	v_fma_f32 v111, v128, v107, -v106
	v_mul_f32_e32 v106, v131, v108
	s_delay_alu instid0(VALU_DEP_1)
	v_fma_f32 v198, v198, v109, -v106
	ds_load_2addr_b64 v[106:109], v199 offset1:63
	ds_load_2addr_b64 v[116:119], v209 offset0:120 offset1:183
	ds_load_2addr_b64 v[120:123], v199 offset0:126 offset1:189
	;; [unrolled: 1-line block ×4, first 2 shown]
	global_wb scope:SCOPE_SE
	s_wait_dscnt 0x0
	s_barrier_signal -1
	s_barrier_wait -1
	global_inv scope:SCOPE_SE
	scratch_load_b32 v207, off, off offset:28 th:TH_LOAD_LU ; 4-byte Folded Reload
	v_dual_sub_f32 v110, v106, v110 :: v_dual_sub_f32 v111, v107, v111
	s_delay_alu instid0(VALU_DEP_1) | instskip(NEXT) | instid1(VALU_DEP_2)
	v_fma_f32 v106, v106, 2.0, -v110
	v_fma_f32 v107, v107, 2.0, -v111
	s_wait_loadcnt 0x0
	ds_store_2addr_b64 v207, v[106:107], v[110:111] offset1:2
	scratch_load_b32 v110, off, off offset:56 th:TH_LOAD_LU ; 4-byte Folded Reload
	v_sub_f32_e32 v106, v108, v206
	v_sub_f32_e32 v107, v109, v198
	;; [unrolled: 1-line block ×3, first 2 shown]
	v_dual_sub_f32 v197, v118, v203 :: v_dual_sub_f32 v198, v119, v205
	s_delay_alu instid0(VALU_DEP_4) | instskip(NEXT) | instid1(VALU_DEP_4)
	v_fma_f32 v108, v108, 2.0, -v106
	v_fma_f32 v109, v109, 2.0, -v107
	s_wait_loadcnt 0x0
	ds_store_2addr_b64 v110, v[108:109], v[106:107] offset1:2
	scratch_load_b32 v110, off, off offset:48 th:TH_LOAD_LU ; 4-byte Folded Reload
	v_dual_sub_f32 v106, v120, v137 :: v_dual_sub_f32 v107, v121, v139
	s_delay_alu instid0(VALU_DEP_1)
	v_fma_f32 v108, v120, 2.0, -v106
	v_sub_f32_e32 v120, v126, v195
	v_fma_f32 v195, v118, 2.0, -v197
	scratch_load_b32 v118, off, off offset:20 th:TH_LOAD_LU ; 4-byte Folded Reload
	v_fma_f32 v109, v121, 2.0, -v107
	v_sub_f32_e32 v121, v127, v134
	s_wait_loadcnt 0x1
	ds_store_2addr_b64 v110, v[108:109], v[106:107] offset1:2
	v_dual_sub_f32 v106, v122, v138 :: v_dual_sub_f32 v107, v123, v136
	v_dual_sub_f32 v110, v124, v135 :: v_dual_sub_f32 v135, v117, v204
	s_delay_alu instid0(VALU_DEP_2) | instskip(NEXT) | instid1(VALU_DEP_3)
	v_fma_f32 v108, v122, 2.0, -v106
	v_fma_f32 v109, v123, 2.0, -v107
	s_delay_alu instid0(VALU_DEP_3)
	v_fma_f32 v122, v124, 2.0, -v110
	v_fma_f32 v123, v125, 2.0, -v111
	;; [unrolled: 1-line block ×4, first 2 shown]
	s_wait_loadcnt 0x0
	ds_store_2addr_b64 v118, v[108:109], v[106:107] offset1:2
	scratch_load_b32 v106, off, off offset:24 th:TH_LOAD_LU ; 4-byte Folded Reload
	v_dual_sub_f32 v126, v128, v133 :: v_dual_sub_f32 v127, v129, v132
	v_dual_sub_f32 v132, v130, v196 :: v_dual_sub_f32 v133, v131, v201
	v_sub_f32_e32 v134, v116, v202
	s_delay_alu instid0(VALU_DEP_3) | instskip(NEXT) | instid1(VALU_DEP_4)
	v_fma_f32 v128, v128, 2.0, -v126
	v_fma_f32 v129, v129, 2.0, -v127
	s_delay_alu instid0(VALU_DEP_4)
	v_fma_f32 v130, v130, 2.0, -v132
	v_fma_f32 v131, v131, 2.0, -v133
	;; [unrolled: 1-line block ×5, first 2 shown]
	s_wait_loadcnt 0x0
	ds_store_2addr_b64 v106, v[122:123], v[110:111] offset1:2
	scratch_load_b32 v106, off, off offset:16 th:TH_LOAD_LU ; 4-byte Folded Reload
	s_wait_loadcnt 0x0
	ds_store_2addr_b64 v106, v[124:125], v[120:121] offset1:2
	scratch_load_b32 v106, off, off offset:12 th:TH_LOAD_LU ; 4-byte Folded Reload
	;; [unrolled: 3-line block ×4, first 2 shown]
	s_wait_loadcnt 0x0
	ds_store_2addr_b64 v106, v[116:117], v[134:135] offset1:2
	scratch_load_b32 v106, off, off th:TH_LOAD_LU ; 4-byte Folded Reload
	s_wait_loadcnt 0x0
	ds_store_2addr_b64 v106, v[195:196], v[197:198] offset1:2
	global_wb scope:SCOPE_SE
	s_wait_dscnt 0x0
	s_barrier_signal -1
	s_barrier_wait -1
	global_inv scope:SCOPE_SE
	ds_load_2addr_b64 v[108:111], v199 offset1:63
	ds_load_2addr_b64 v[136:139], v114 offset0:164 offset1:227
	ds_load_2addr_b64 v[132:135], v105 offset0:72 offset1:135
	;; [unrolled: 1-line block ×8, first 2 shown]
	s_and_saveexec_b32 s1, vcc_lo
	s_cbranch_execz .LBB0_15
; %bb.14:
	ds_load_b64 v[195:196], v199 offset:3024
	ds_load_b64 v[197:198], v199 offset:6384
	;; [unrolled: 1-line block ×3, first 2 shown]
.LBB0_15:
	s_wait_alu 0xfffe
	s_or_b32 exec_lo, exec_lo, s1
	s_wait_dscnt 0x6
	v_dual_mul_f32 v201, v1, v137 :: v_dual_mul_f32 v204, v3, v132
	v_dual_mul_f32 v202, v1, v136 :: v_dual_mul_f32 v203, v3, v133
	global_wb scope:SCOPE_SE
	s_wait_dscnt 0x0
	v_fmac_f32_e32 v201, v0, v136
	v_fma_f32 v133, v2, v133, -v204
	v_fma_f32 v136, v0, v137, -v202
	v_mul_f32_e32 v137, v188, v139
	v_dual_fmac_f32 v203, v2, v132 :: v_dual_mul_f32 v132, v188, v138
	v_mul_f32_e32 v188, v186, v135
	s_barrier_signal -1
	s_delay_alu instid0(VALU_DEP_3) | instskip(SKIP_4) | instid1(VALU_DEP_4)
	v_fmac_f32_e32 v137, v229, v138
	v_mul_f32_e32 v138, v186, v134
	v_fma_f32 v132, v229, v139, -v132
	v_dual_mul_f32 v139, v184, v129 :: v_dual_fmac_f32 v188, v190, v134
	v_mul_f32_e32 v134, v184, v128
	v_fma_f32 v135, v190, v135, -v138
	s_delay_alu instid0(VALU_DEP_3) | instskip(SKIP_1) | instid1(VALU_DEP_4)
	v_dual_mul_f32 v138, v182, v125 :: v_dual_fmac_f32 v139, v228, v128
	v_mul_f32_e32 v128, v182, v124
	v_fma_f32 v129, v228, v129, -v134
	v_mul_f32_e32 v134, v5, v131
	s_delay_alu instid0(VALU_DEP_4) | instskip(NEXT) | instid1(VALU_DEP_4)
	v_dual_fmac_f32 v138, v192, v124 :: v_dual_mul_f32 v5, v5, v130
	v_fma_f32 v124, v192, v125, -v128
	v_mul_f32_e32 v125, v7, v127
	v_mul_f32_e32 v7, v7, v126
	v_fmac_f32_e32 v134, v4, v130
	v_mul_f32_e32 v130, v1, v121
	v_mul_f32_e32 v1, v1, v120
	v_fmac_f32_e32 v125, v6, v126
	v_fma_f32 v126, v6, v127, -v7
	s_delay_alu instid0(VALU_DEP_4) | instskip(SKIP_3) | instid1(VALU_DEP_4)
	v_dual_mul_f32 v127, v3, v117 :: v_dual_fmac_f32 v130, v0, v120
	v_fma_f32 v128, v4, v131, -v5
	v_dual_mul_f32 v3, v3, v116 :: v_dual_mul_f32 v182, v189, v123
	v_fma_f32 v131, v0, v121, -v1
	v_dual_fmac_f32 v127, v2, v116 :: v_dual_mul_f32 v0, v189, v122
	s_delay_alu instid0(VALU_DEP_3)
	v_fma_f32 v184, v2, v117, -v3
	v_mul_f32_e32 v186, v223, v119
	v_fmac_f32_e32 v182, v187, v122
	v_mul_f32_e32 v1, v223, v118
	v_fma_f32 v187, v187, v123, -v0
	v_dual_mul_f32 v0, v191, v197 :: v_dual_add_f32 v5, v109, v136
	v_dual_mul_f32 v190, v222, v194 :: v_dual_sub_f32 v3, v136, v133
	v_dual_mul_f32 v189, v191, v198 :: v_dual_add_f32 v2, v108, v201
	v_add_f32_e32 v7, v137, v188
	s_delay_alu instid0(VALU_DEP_3) | instskip(NEXT) | instid1(VALU_DEP_3)
	v_fmac_f32_e32 v190, v181, v193
	v_dual_fmac_f32 v186, v185, v118 :: v_dual_fmac_f32 v189, v183, v197
	v_fma_f32 v183, v183, v198, -v0
	v_add_f32_e32 v0, v201, v203
	v_fma_f32 v185, v185, v119, -v1
	v_dual_mul_f32 v1, v222, v193 :: v_dual_add_f32 v116, v111, v132
	v_add_f32_e32 v2, v2, v203
	s_delay_alu instid0(VALU_DEP_4) | instskip(SKIP_1) | instid1(VALU_DEP_4)
	v_fma_f32 v0, -0.5, v0, v108
	v_add_f32_e32 v108, v110, v137
	v_fma_f32 v181, v181, v194, -v1
	v_add_f32_e32 v1, v136, v133
	v_fma_f32 v110, -0.5, v7, v110
	v_sub_f32_e32 v7, v132, v135
	v_sub_f32_e32 v117, v137, v188
	v_dual_add_f32 v120, v113, v129 :: v_dual_sub_f32 v121, v139, v138
	v_fma_f32 v1, -0.5, v1, v109
	v_add_f32_e32 v109, v132, v135
	v_sub_f32_e32 v6, v201, v203
	s_barrier_wait -1
	global_inv scope:SCOPE_SE
	v_dual_sub_f32 v136, v189, v190 :: v_dual_fmac_f32 v111, -0.5, v109
	v_fmamk_f32 v4, v3, 0xbf5db3d7, v0
	v_dual_fmac_f32 v0, 0x3f5db3d7, v3 :: v_dual_add_f32 v3, v5, v133
	v_fmamk_f32 v5, v6, 0x3f5db3d7, v1
	v_dual_fmac_f32 v1, 0xbf5db3d7, v6 :: v_dual_add_f32 v6, v108, v188
	v_fmamk_f32 v108, v7, 0xbf5db3d7, v110
	v_dual_fmamk_f32 v109, v117, 0x3f5db3d7, v111 :: v_dual_fmac_f32 v110, 0x3f5db3d7, v7
	v_dual_add_f32 v7, v116, v135 :: v_dual_add_f32 v116, v139, v138
	v_dual_add_f32 v118, v112, v139 :: v_dual_fmac_f32 v111, 0xbf5db3d7, v117
	v_add_f32_e32 v117, v129, v124
	v_sub_f32_e32 v119, v129, v124
	s_delay_alu instid0(VALU_DEP_4) | instskip(NEXT) | instid1(VALU_DEP_4)
	v_fma_f32 v112, -0.5, v116, v112
	v_dual_add_f32 v116, v118, v138 :: v_dual_add_f32 v129, v105, v131
	s_delay_alu instid0(VALU_DEP_4) | instskip(NEXT) | instid1(VALU_DEP_3)
	v_fma_f32 v113, -0.5, v117, v113
	v_dual_add_f32 v117, v120, v124 :: v_dual_fmamk_f32 v118, v119, 0xbf5db3d7, v112
	v_fmac_f32_e32 v112, 0x3f5db3d7, v119
	s_delay_alu instid0(VALU_DEP_3) | instskip(SKIP_2) | instid1(VALU_DEP_3)
	v_dual_add_f32 v120, v134, v125 :: v_dual_fmamk_f32 v119, v121, 0x3f5db3d7, v113
	v_dual_add_f32 v122, v114, v134 :: v_dual_fmac_f32 v113, 0xbf5db3d7, v121
	v_add_f32_e32 v121, v128, v126
	v_fma_f32 v114, -0.5, v120, v114
	s_delay_alu instid0(VALU_DEP_3) | instskip(NEXT) | instid1(VALU_DEP_3)
	v_dual_sub_f32 v123, v128, v126 :: v_dual_add_f32 v120, v122, v125
	v_dual_add_f32 v124, v115, v128 :: v_dual_fmac_f32 v115, -0.5, v121
	s_delay_alu instid0(VALU_DEP_2) | instskip(NEXT) | instid1(VALU_DEP_2)
	v_dual_sub_f32 v125, v134, v125 :: v_dual_fmamk_f32 v122, v123, 0xbf5db3d7, v114
	v_dual_fmac_f32 v114, 0x3f5db3d7, v123 :: v_dual_add_f32 v121, v124, v126
	s_delay_alu instid0(VALU_DEP_2) | instskip(SKIP_2) | instid1(VALU_DEP_3)
	v_dual_add_f32 v124, v130, v127 :: v_dual_fmamk_f32 v123, v125, 0x3f5db3d7, v115
	v_dual_add_f32 v126, v104, v130 :: v_dual_fmac_f32 v115, 0xbf5db3d7, v125
	v_add_f32_e32 v125, v131, v184
	v_fma_f32 v104, -0.5, v124, v104
	v_sub_f32_e32 v128, v131, v184
	s_delay_alu instid0(VALU_DEP_4) | instskip(SKIP_2) | instid1(VALU_DEP_4)
	v_add_f32_e32 v124, v126, v127
	v_sub_f32_e32 v130, v130, v127
	v_fma_f32 v105, -0.5, v125, v105
	v_dual_add_f32 v125, v129, v184 :: v_dual_fmamk_f32 v126, v128, 0xbf5db3d7, v104
	v_dual_add_f32 v129, v106, v182 :: v_dual_fmac_f32 v104, 0x3f5db3d7, v128
	s_delay_alu instid0(VALU_DEP_3) | instskip(SKIP_3) | instid1(VALU_DEP_3)
	v_fmamk_f32 v127, v130, 0x3f5db3d7, v105
	v_dual_add_f32 v128, v182, v186 :: v_dual_sub_f32 v131, v187, v185
	v_dual_fmac_f32 v105, 0xbf5db3d7, v130 :: v_dual_add_f32 v130, v187, v185
	v_add_f32_e32 v133, v189, v190
	v_fma_f32 v106, -0.5, v128, v106
	v_dual_add_f32 v128, v129, v186 :: v_dual_add_f32 v129, v107, v187
	s_delay_alu instid0(VALU_DEP_4) | instskip(SKIP_1) | instid1(VALU_DEP_4)
	v_fmac_f32_e32 v107, -0.5, v130
	v_sub_f32_e32 v132, v182, v186
	v_fmamk_f32 v130, v131, 0xbf5db3d7, v106
	s_delay_alu instid0(VALU_DEP_4) | instskip(NEXT) | instid1(VALU_DEP_3)
	v_dual_fmac_f32 v106, 0x3f5db3d7, v131 :: v_dual_add_f32 v129, v129, v185
	v_dual_add_f32 v134, v189, v195 :: v_dual_fmamk_f32 v131, v132, 0x3f5db3d7, v107
	v_dual_fmac_f32 v107, 0xbf5db3d7, v132 :: v_dual_add_f32 v132, v183, v181
	v_fmac_f32_e32 v195, -0.5, v133
	v_sub_f32_e32 v133, v183, v181
	v_add_f32_e32 v135, v183, v196
	s_delay_alu instid0(VALU_DEP_4) | instskip(SKIP_1) | instid1(VALU_DEP_4)
	v_fmac_f32_e32 v196, -0.5, v132
	v_add_f32_e32 v132, v134, v190
	v_fmamk_f32 v134, v133, 0xbf5db3d7, v195
	v_fmac_f32_e32 v195, 0x3f5db3d7, v133
	v_add_f32_e32 v133, v181, v135
	v_fmamk_f32 v135, v136, 0x3f5db3d7, v196
	v_fmac_f32_e32 v196, 0xbf5db3d7, v136
	scratch_load_b32 v136, off, off offset:84 th:TH_LOAD_LU ; 4-byte Folded Reload
	s_wait_loadcnt 0x0
	ds_store_2addr_b64 v136, v[2:3], v[4:5] offset1:4
	ds_store_b64 v136, v[0:1] offset:64
	scratch_load_b32 v0, off, off offset:80 th:TH_LOAD_LU ; 4-byte Folded Reload
	s_wait_loadcnt 0x0
	ds_store_2addr_b64 v0, v[6:7], v[108:109] offset1:4
	ds_store_b64 v0, v[110:111] offset:64
	scratch_load_b32 v0, off, off offset:72 th:TH_LOAD_LU ; 4-byte Folded Reload
	s_wait_loadcnt 0x0
	ds_store_2addr_b64 v0, v[116:117], v[118:119] offset1:4
	ds_store_b64 v0, v[112:113] offset:64
	scratch_load_b32 v0, off, off offset:68 th:TH_LOAD_LU ; 4-byte Folded Reload
	s_wait_loadcnt 0x0
	ds_store_2addr_b64 v0, v[120:121], v[122:123] offset1:4
	ds_store_b64 v0, v[114:115] offset:64
	scratch_load_b32 v0, off, off offset:64 th:TH_LOAD_LU ; 4-byte Folded Reload
	s_wait_loadcnt 0x0
	ds_store_2addr_b64 v0, v[124:125], v[126:127] offset1:4
	ds_store_b64 v0, v[104:105] offset:64
	scratch_load_b32 v0, off, off offset:60 th:TH_LOAD_LU ; 4-byte Folded Reload
	s_wait_loadcnt 0x0
	ds_store_2addr_b64 v0, v[128:129], v[130:131] offset1:4
	ds_store_b64 v0, v[106:107] offset:64
	s_and_saveexec_b32 s1, vcc_lo
	s_cbranch_execz .LBB0_17
; %bb.16:
	s_clause 0x1
	scratch_load_b32 v0, off, off offset:112 th:TH_LOAD_LU
	scratch_load_b32 v1, off, off offset:108 th:TH_LOAD_LU
	s_wait_loadcnt 0x1
	v_mul_u32_u24_e32 v0, 12, v0
	s_wait_loadcnt 0x0
	s_delay_alu instid0(VALU_DEP_1) | instskip(NEXT) | instid1(VALU_DEP_1)
	v_or_b32_e32 v0, v0, v1
	v_lshlrev_b32_e32 v0, 3, v0
	ds_store_2addr_b64 v0, v[132:133], v[134:135] offset1:4
	ds_store_b64 v0, v[195:196] offset:64
.LBB0_17:
	s_wait_alu 0xfffe
	s_or_b32 exec_lo, exec_lo, s1
	v_add_nc_u32_e32 v0, 0x800, v199
	v_add_nc_u32_e32 v1, 0x1800, v199
	;; [unrolled: 1-line block ×3, first 2 shown]
	global_wb scope:SCOPE_SE
	s_wait_dscnt 0x0
	s_barrier_signal -1
	s_barrier_wait -1
	global_inv scope:SCOPE_SE
	ds_load_2addr_b64 v[4:7], v199 offset1:63
	ds_load_2addr_b64 v[128:131], v0 offset0:164 offset1:227
	ds_load_2addr_b64 v[116:119], v1 offset0:72 offset1:135
	v_add_nc_u32_e32 v0, 0x1c00, v199
	v_add_nc_u32_e32 v1, 0x400, v199
	;; [unrolled: 1-line block ×3, first 2 shown]
	ds_load_2addr_b64 v[104:107], v199 offset0:126 offset1:189
	ds_load_2addr_b64 v[124:127], v108 offset0:34 offset1:97
	ds_load_2addr_b64 v[120:123], v0 offset0:70 offset1:133
	ds_load_2addr_b64 v[0:3], v1 offset0:124 offset1:187
	ds_load_2addr_b64 v[112:115], v108 offset0:160 offset1:223
	ds_load_2addr_b64 v[108:111], v109 offset0:68 offset1:131
	s_and_saveexec_b32 s1, vcc_lo
	s_cbranch_execz .LBB0_19
; %bb.18:
	ds_load_b64 v[132:133], v199 offset:3024
	ds_load_b64 v[134:135], v199 offset:6384
	;; [unrolled: 1-line block ×3, first 2 shown]
.LBB0_19:
	s_wait_alu 0xfffe
	s_or_b32 exec_lo, exec_lo, s1
	s_wait_dscnt 0x7
	v_mul_f32_e32 v136, v33, v129
	s_wait_dscnt 0x6
	v_dual_mul_f32 v137, v35, v117 :: v_dual_mul_f32 v138, v29, v131
	v_mul_f32_e32 v35, v35, v116
	v_mul_f32_e32 v33, v33, v128
	v_dual_fmac_f32 v136, v32, v128 :: v_dual_mul_f32 v29, v29, v130
	s_delay_alu instid0(VALU_DEP_4) | instskip(NEXT) | instid1(VALU_DEP_3)
	v_dual_fmac_f32 v138, v28, v130 :: v_dual_fmac_f32 v137, v34, v116
	v_fma_f32 v32, v32, v129, -v33
	v_fma_f32 v33, v34, v117, -v35
	v_mul_f32_e32 v34, v31, v119
	v_fma_f32 v28, v28, v131, -v29
	s_wait_dscnt 0x4
	v_dual_mul_f32 v29, v31, v118 :: v_dual_mul_f32 v116, v21, v127
	s_delay_alu instid0(VALU_DEP_3)
	v_dual_mul_f32 v31, v25, v125 :: v_dual_fmac_f32 v34, v30, v118
	v_mul_f32_e32 v25, v25, v124
	s_wait_dscnt 0x3
	v_mul_f32_e32 v35, v27, v121
	v_fma_f32 v29, v30, v119, -v29
	v_mul_f32_e32 v117, v23, v123
	s_wait_dscnt 0x1
	v_mul_f32_e32 v119, v17, v113
	v_mul_f32_e32 v17, v17, v112
	v_fmac_f32_e32 v31, v24, v124
	v_mul_f32_e32 v21, v21, v126
	v_mul_f32_e32 v23, v23, v122
	v_fmac_f32_e32 v116, v20, v126
	v_fma_f32 v25, v24, v125, -v25
	v_dual_mul_f32 v24, v27, v120 :: v_dual_fmac_f32 v117, v22, v122
	v_dual_fmac_f32 v119, v16, v112 :: v_dual_mul_f32 v122, v13, v115
	v_fmac_f32_e32 v35, v26, v120
	v_fma_f32 v112, v16, v113, -v17
	s_wait_dscnt 0x0
	v_dual_mul_f32 v16, v13, v114 :: v_dual_mul_f32 v113, v15, v111
	v_mul_f32_e32 v15, v15, v110
	v_mul_f32_e32 v13, v9, v135
	v_mul_f32_e32 v9, v9, v134
	v_fma_f32 v27, v26, v121, -v24
	v_fma_f32 v118, v20, v127, -v21
	v_fmac_f32_e32 v122, v12, v114
	v_fma_f32 v114, v12, v115, -v16
	v_fmac_f32_e32 v113, v14, v110
	;; [unrolled: 2-line block ×3, first 2 shown]
	v_add_f32_e32 v12, v136, v137
	v_fma_f32 v9, v8, v135, -v9
	v_mul_f32_e32 v8, v11, v196
	v_mul_f32_e32 v14, v11, v195
	v_add_f32_e32 v21, v31, v35
	v_fma_f32 v11, -0.5, v12, v4
	v_sub_f32_e32 v12, v32, v33
	v_fma_f32 v120, v22, v123, -v23
	v_mul_f32_e32 v121, v19, v109
	v_dual_mul_f32 v19, v19, v108 :: v_dual_fmac_f32 v8, v10, v195
	v_fma_f32 v22, -0.5, v21, v104
	v_sub_f32_e32 v23, v25, v27
	v_add_f32_e32 v15, v4, v136
	v_fma_f32 v4, v10, v196, -v14
	v_add_f32_e32 v10, v32, v33
	v_fmamk_f32 v16, v12, 0xbf5db3d7, v11
	v_fmamk_f32 v26, v23, 0xbf5db3d7, v22
	v_fmac_f32_e32 v11, 0x3f5db3d7, v12
	v_dual_add_f32 v17, v138, v34 :: v_dual_fmac_f32 v22, 0x3f5db3d7, v23
	v_fma_f32 v12, -0.5, v10, v5
	v_add_f32_e32 v10, v6, v138
	v_fma_f32 v109, v18, v109, -v19
	v_dual_add_f32 v14, v15, v137 :: v_dual_add_f32 v15, v5, v32
	v_sub_f32_e32 v5, v136, v137
	v_fmac_f32_e32 v121, v18, v108
	v_fma_f32 v6, -0.5, v17, v6
	v_dual_sub_f32 v19, v28, v29 :: v_dual_add_f32 v18, v10, v34
	s_delay_alu instid0(VALU_DEP_4) | instskip(SKIP_1) | instid1(VALU_DEP_3)
	v_dual_add_f32 v10, v7, v28 :: v_dual_fmamk_f32 v17, v5, 0x3f5db3d7, v12
	v_fmac_f32_e32 v12, 0xbf5db3d7, v5
	v_dual_add_f32 v5, v28, v29 :: v_dual_fmamk_f32 v20, v19, 0xbf5db3d7, v6
	s_delay_alu instid0(VALU_DEP_3) | instskip(NEXT) | instid1(VALU_DEP_2)
	v_dual_fmac_f32 v6, 0x3f5db3d7, v19 :: v_dual_add_f32 v19, v10, v29
	v_dual_add_f32 v10, v104, v31 :: v_dual_fmac_f32 v7, -0.5, v5
	v_dual_sub_f32 v29, v118, v120 :: v_dual_add_f32 v104, v3, v114
	v_sub_f32_e32 v5, v138, v34
	s_delay_alu instid0(VALU_DEP_3)
	v_add_f32_e32 v24, v10, v35
	v_add_f32_e32 v10, v105, v25
	;; [unrolled: 1-line block ×3, first 2 shown]
	global_wb scope:SCOPE_SE
	v_fmamk_f32 v21, v5, 0x3f5db3d7, v7
	v_fmac_f32_e32 v7, 0xbf5db3d7, v5
	v_add_f32_e32 v5, v25, v27
	v_add_f32_e32 v25, v10, v27
	;; [unrolled: 1-line block ×3, first 2 shown]
	v_fma_f32 v106, -0.5, v28, v106
	v_add_f32_e32 v15, v15, v33
	v_fma_f32 v23, -0.5, v5, v105
	s_delay_alu instid0(VALU_DEP_4) | instskip(SKIP_2) | instid1(VALU_DEP_3)
	v_dual_sub_f32 v5, v31, v35 :: v_dual_add_f32 v28, v10, v117
	v_add_f32_e32 v10, v107, v118
	v_fmamk_f32 v30, v29, 0xbf5db3d7, v106
	v_dual_fmac_f32 v106, 0x3f5db3d7, v29 :: v_dual_fmamk_f32 v27, v5, 0x3f5db3d7, v23
	v_fmac_f32_e32 v23, 0xbf5db3d7, v5
	v_add_f32_e32 v5, v118, v120
	v_add_f32_e32 v31, v119, v121
	v_dual_add_f32 v29, v10, v120 :: v_dual_add_f32 v10, v0, v119
	s_barrier_signal -1
	s_delay_alu instid0(VALU_DEP_3)
	v_fmac_f32_e32 v107, -0.5, v5
	v_sub_f32_e32 v5, v116, v117
	v_fma_f32 v32, -0.5, v31, v0
	v_sub_f32_e32 v0, v112, v109
	v_add_f32_e32 v34, v10, v121
	v_add_f32_e32 v10, v1, v112
	s_barrier_wait -1
	global_inv scope:SCOPE_SE
	v_fmamk_f32 v108, v0, 0xbf5db3d7, v32
	v_fmac_f32_e32 v32, 0x3f5db3d7, v0
	v_add_f32_e32 v0, v122, v113
	v_dual_add_f32 v35, v10, v109 :: v_dual_add_f32 v10, v9, v4
	v_fmamk_f32 v31, v5, 0x3f5db3d7, v107
	v_fmac_f32_e32 v107, 0xbf5db3d7, v5
	v_add_f32_e32 v5, v112, v109
	v_sub_f32_e32 v105, v122, v113
	s_delay_alu instid0(VALU_DEP_2) | instskip(SKIP_3) | instid1(VALU_DEP_3)
	v_fma_f32 v33, -0.5, v5, v1
	v_add_f32_e32 v5, v2, v122
	v_fma_f32 v2, -0.5, v0, v2
	v_dual_sub_f32 v0, v114, v111 :: v_dual_sub_f32 v1, v119, v121
	v_add_f32_e32 v110, v5, v113
	s_delay_alu instid0(VALU_DEP_2)
	v_dual_sub_f32 v5, v9, v4 :: v_dual_fmamk_f32 v112, v0, 0xbf5db3d7, v2
	v_fmac_f32_e32 v2, 0x3f5db3d7, v0
	v_add_f32_e32 v0, v13, v8
	ds_store_2addr_b64 v236, v[14:15], v[16:17] offset1:12
	ds_store_b64 v236, v[11:12] offset:192
	ds_store_2addr_b64 v235, v[18:19], v[20:21] offset1:12
	ds_store_b64 v235, v[6:7] offset:192
	;; [unrolled: 2-line block ×3, first 2 shown]
	scratch_load_b32 v6, off, off offset:100 th:TH_LOAD_LU ; 4-byte Folded Reload
	v_fmamk_f32 v109, v1, 0x3f5db3d7, v33
	v_fmac_f32_e32 v33, 0xbf5db3d7, v1
	v_fma_f32 v0, -0.5, v0, v132
	v_add_f32_e32 v1, v114, v111
	s_delay_alu instid0(VALU_DEP_2) | instskip(NEXT) | instid1(VALU_DEP_2)
	v_dual_add_f32 v111, v104, v111 :: v_dual_fmamk_f32 v104, v5, 0x3f5db3d7, v0
	v_fmac_f32_e32 v3, -0.5, v1
	v_fma_f32 v1, -0.5, v10, v133
	v_sub_f32_e32 v10, v13, v8
	s_wait_loadcnt 0x0
	ds_store_2addr_b64 v6, v[28:29], v[30:31] offset1:12
	ds_store_b64 v6, v[106:107] offset:192
	scratch_load_b32 v6, off, off offset:96 th:TH_LOAD_LU ; 4-byte Folded Reload
	v_fmamk_f32 v113, v105, 0x3f5db3d7, v3
	v_fmac_f32_e32 v3, 0xbf5db3d7, v105
	v_fmamk_f32 v105, v10, 0xbf5db3d7, v1
	s_wait_loadcnt 0x0
	ds_store_2addr_b64 v6, v[34:35], v[108:109] offset1:12
	ds_store_b64 v6, v[32:33] offset:192
	scratch_load_b32 v6, off, off offset:92 th:TH_LOAD_LU ; 4-byte Folded Reload
	s_wait_loadcnt 0x0
	ds_store_2addr_b64 v6, v[110:111], v[112:113] offset1:12
	ds_store_b64 v6, v[2:3] offset:192
	s_and_saveexec_b32 s1, vcc_lo
	s_cbranch_execz .LBB0_21
; %bb.20:
	scratch_load_b32 v3, off, off offset:88 th:TH_LOAD_LU ; 4-byte Folded Reload
	v_dual_add_f32 v2, v9, v133 :: v_dual_mul_f32 v7, 0x3f5db3d7, v10
	v_dual_add_f32 v6, v13, v132 :: v_dual_mul_f32 v5, 0x3f5db3d7, v5
	s_delay_alu instid0(VALU_DEP_2) | instskip(SKIP_1) | instid1(VALU_DEP_2)
	v_add_f32_e32 v1, v7, v1
	s_wait_loadcnt 0x0
	v_dual_sub_f32 v0, v0, v5 :: v_dual_and_b32 v9, 0xffff, v3
	s_delay_alu instid0(VALU_DEP_3) | instskip(NEXT) | instid1(VALU_DEP_2)
	v_dual_add_f32 v3, v4, v2 :: v_dual_add_f32 v2, v6, v8
	v_lshlrev_b32_e32 v4, 3, v9
	ds_store_2addr_b64 v4, v[2:3], v[0:1] offset1:12
	ds_store_b64 v4, v[104:105] offset:192
.LBB0_21:
	s_wait_alu 0xfffe
	s_or_b32 exec_lo, exec_lo, s1
	v_add_nc_u32_e32 v0, 0x400, v199
	v_add_nc_u32_e32 v1, 0xc00, v199
	global_wb scope:SCOPE_SE
	s_wait_dscnt 0x0
	s_barrier_signal -1
	s_barrier_wait -1
	global_inv scope:SCOPE_SE
	ds_load_2addr_b64 v[10:13], v0 offset0:124 offset1:187
	ds_load_2addr_b64 v[14:17], v1 offset0:120 offset1:183
	v_add_nc_u32_e32 v24, 0x1800, v199
	v_add_nc_u32_e32 v20, 0x1400, v199
	s_wait_dscnt 0x1
	v_dual_mul_f32 v27, v37, v13 :: v_dual_add_nc_u32 v28, 0x2000, v199
	v_mul_f32_e32 v4, v45, v11
	v_mul_f32_e32 v5, v45, v10
	s_wait_dscnt 0x0
	s_delay_alu instid0(VALU_DEP_3) | instskip(NEXT) | instid1(VALU_DEP_3)
	v_dual_mul_f32 v18, v47, v14 :: v_dual_fmac_f32 v27, v36, v12
	v_dual_mul_f32 v23, v47, v15 :: v_dual_fmac_f32 v4, v44, v10
	v_add_nc_u32_e32 v0, 0x1c00, v199
	v_fma_f32 v5, v44, v11, -v5
	s_delay_alu instid0(VALU_DEP_3)
	v_fmac_f32_e32 v23, v46, v14
	ds_load_2addr_b64 v[29:32], v20 offset0:116 offset1:179
	ds_load_2addr_b64 v[106:109], v0 offset0:112 offset1:175
	ds_load_2addr_b64 v[6:9], v199 offset1:63
	v_add_nc_u32_e32 v21, 0x800, v199
	v_add_nc_u32_e32 v22, 0x1000, v199
	v_fma_f32 v14, v46, v15, -v18
	v_sub_f32_e32 v25, v4, v23
	s_wait_dscnt 0x2
	v_mul_f32_e32 v19, v41, v29
	s_wait_dscnt 0x1
	v_mul_f32_e32 v11, v43, v106
	v_mul_f32_e32 v26, v41, v30
	v_dual_mul_f32 v10, v43, v107 :: v_dual_mul_f32 v41, v53, v32
	v_fma_f32 v15, v40, v30, -v19
	v_mul_f32_e32 v19, v39, v16
	ds_load_2addr_b64 v[0:3], v199 offset0:126 offset1:189
	ds_load_2addr_b64 v[110:113], v21 offset0:122 offset1:185
	;; [unrolled: 1-line block ×5, first 2 shown]
	v_fmac_f32_e32 v26, v40, v29
	v_mul_f32_e32 v18, v37, v12
	v_mul_f32_e32 v40, v39, v17
	v_dual_fmac_f32 v10, v42, v106 :: v_dual_fmac_f32 v41, v52, v31
	v_fma_f32 v11, v42, v107, -v11
	v_sub_f32_e32 v30, v14, v15
	s_delay_alu instid0(VALU_DEP_4) | instskip(NEXT) | instid1(VALU_DEP_4)
	v_fmac_f32_e32 v40, v38, v16
	v_dual_mul_f32 v16, v53, v31 :: v_dual_add_f32 v31, v4, v10
	global_wb scope:SCOPE_SE
	s_wait_dscnt 0x0
	s_barrier_signal -1
	s_barrier_wait -1
	global_inv scope:SCOPE_SE
	v_mul_f32_e32 v53, v99, v123
	v_fma_f32 v12, v36, v13, -v18
	v_fma_f32 v13, v38, v17, -v19
	v_mul_f32_e32 v17, v55, v108
	s_delay_alu instid0(VALU_DEP_4) | instskip(SKIP_2) | instid1(VALU_DEP_4)
	v_dual_mul_f32 v36, v55, v109 :: v_dual_fmac_f32 v53, v98, v122
	v_fma_f32 v43, v52, v32, -v16
	v_mul_f32_e32 v52, v97, v119
	v_fma_f32 v44, v54, v109, -v17
	v_mul_f32_e32 v17, v97, v118
	v_mul_f32_e32 v18, v101, v110
	v_dual_mul_f32 v16, v103, v114 :: v_dual_sub_f32 v19, v5, v11
	v_fmac_f32_e32 v52, v96, v118
	s_delay_alu instid0(VALU_DEP_4)
	v_fma_f32 v55, v96, v119, -v17
	v_dual_mul_f32 v96, v93, v113 :: v_dual_sub_f32 v29, v10, v26
	v_mul_f32_e32 v17, v93, v112
	v_dual_mul_f32 v93, v95, v117 :: v_dual_mul_f32 v42, v101, v111
	v_dual_fmac_f32 v36, v54, v108 :: v_dual_mul_f32 v97, v89, v121
	v_mul_f32_e32 v46, v103, v115
	v_fmac_f32_e32 v96, v92, v112
	v_fma_f32 v92, v92, v113, -v17
	v_dual_fmac_f32 v93, v94, v116 :: v_dual_fmac_f32 v42, v100, v110
	v_mul_f32_e32 v17, v89, v120
	v_mul_f32_e32 v89, v91, v125
	v_fma_f32 v47, v100, v111, -v18
	v_mul_f32_e32 v18, v95, v116
	v_fma_f32 v54, v102, v115, -v16
	v_dual_mul_f32 v16, v99, v122 :: v_dual_add_f32 v33, v25, v29
	v_dual_fmac_f32 v97, v88, v120 :: v_dual_fmac_f32 v46, v102, v114
	s_delay_alu instid0(VALU_DEP_4) | instskip(SKIP_1) | instid1(VALU_DEP_4)
	v_fma_f32 v94, v94, v117, -v18
	v_add_f32_e32 v18, v6, v4
	v_fma_f32 v95, v98, v123, -v16
	v_fma_f32 v88, v88, v121, -v17
	v_fma_f32 v25, -0.5, v31, v6
	s_delay_alu instid0(VALU_DEP_4) | instskip(SKIP_1) | instid1(VALU_DEP_3)
	v_dual_add_f32 v16, v23, v26 :: v_dual_add_f32 v17, v18, v23
	v_fmac_f32_e32 v89, v90, v124
	v_fmamk_f32 v31, v30, 0x3f737871, v25
	s_delay_alu instid0(VALU_DEP_3) | instskip(NEXT) | instid1(VALU_DEP_4)
	v_fma_f32 v16, -0.5, v16, v6
	v_dual_add_f32 v17, v17, v26 :: v_dual_sub_f32 v6, v23, v4
	s_delay_alu instid0(VALU_DEP_3) | instskip(NEXT) | instid1(VALU_DEP_2)
	v_dual_mul_f32 v32, v91, v124 :: v_dual_fmac_f32 v31, 0xbf167918, v19
	v_dual_fmamk_f32 v18, v19, 0xbf737871, v16 :: v_dual_add_f32 v29, v17, v10
	v_sub_f32_e32 v17, v26, v10
	v_sub_f32_e32 v4, v4, v10
	s_delay_alu instid0(VALU_DEP_4) | instskip(NEXT) | instid1(VALU_DEP_3)
	v_fma_f32 v90, v90, v125, -v32
	v_dual_sub_f32 v23, v23, v26 :: v_dual_add_f32 v6, v6, v17
	s_delay_alu instid0(VALU_DEP_1) | instskip(SKIP_2) | instid1(VALU_DEP_2)
	v_fmac_f32_e32 v31, 0x3e9e377a, v6
	v_dual_fmac_f32 v25, 0xbf737871, v30 :: v_dual_add_f32 v32, v7, v5
	v_fmac_f32_e32 v18, 0xbf167918, v30
	v_fmac_f32_e32 v25, 0x3f167918, v19
	v_add_f32_e32 v34, v14, v15
	s_delay_alu instid0(VALU_DEP_2) | instskip(NEXT) | instid1(VALU_DEP_2)
	v_dual_fmac_f32 v18, 0x3e9e377a, v33 :: v_dual_fmac_f32 v25, 0x3e9e377a, v6
	v_fma_f32 v17, -0.5, v34, v7
	s_delay_alu instid0(VALU_DEP_1) | instskip(NEXT) | instid1(VALU_DEP_1)
	v_dual_fmac_f32 v16, 0x3f737871, v19 :: v_dual_fmamk_f32 v19, v4, 0x3f737871, v17
	v_fmac_f32_e32 v16, 0x3f167918, v30
	v_add_f32_e32 v30, v32, v14
	s_delay_alu instid0(VALU_DEP_3) | instskip(NEXT) | instid1(VALU_DEP_3)
	v_dual_sub_f32 v32, v5, v14 :: v_dual_fmac_f32 v19, 0x3f167918, v23
	v_dual_fmac_f32 v16, 0x3e9e377a, v33 :: v_dual_sub_f32 v33, v11, v15
	s_delay_alu instid0(VALU_DEP_1) | instskip(NEXT) | instid1(VALU_DEP_4)
	v_add_f32_e32 v6, v32, v33
	v_add_f32_e32 v10, v30, v15
	v_dual_add_f32 v30, v5, v11 :: v_dual_sub_f32 v5, v14, v5
	s_delay_alu instid0(VALU_DEP_1) | instskip(SKIP_3) | instid1(VALU_DEP_3)
	v_fma_f32 v26, -0.5, v30, v7
	v_sub_f32_e32 v7, v15, v11
	v_fmac_f32_e32 v17, 0xbf737871, v4
	v_add_f32_e32 v15, v27, v36
	v_dual_fmamk_f32 v32, v23, 0xbf737871, v26 :: v_dual_add_f32 v5, v5, v7
	v_add_f32_e32 v7, v8, v27
	s_delay_alu instid0(VALU_DEP_4) | instskip(SKIP_2) | instid1(VALU_DEP_3)
	v_fmac_f32_e32 v17, 0xbf167918, v23
	v_fmac_f32_e32 v19, 0x3e9e377a, v6
	v_dual_fmac_f32 v26, 0x3f737871, v23 :: v_dual_add_f32 v23, v96, v89
	v_dual_fmac_f32 v17, 0x3e9e377a, v6 :: v_dual_add_f32 v30, v10, v11
	v_dual_sub_f32 v11, v27, v40 :: v_dual_add_f32 v10, v40, v41
	v_dual_add_f32 v6, v7, v40 :: v_dual_sub_f32 v7, v13, v43
	s_delay_alu instid0(VALU_DEP_2) | instskip(SKIP_3) | instid1(VALU_DEP_3)
	v_fma_f32 v33, -0.5, v10, v8
	v_sub_f32_e32 v10, v12, v44
	v_fma_f32 v8, -0.5, v15, v8
	v_sub_f32_e32 v15, v89, v97
	v_fmamk_f32 v35, v10, 0xbf737871, v33
	s_delay_alu instid0(VALU_DEP_3) | instskip(SKIP_1) | instid1(VALU_DEP_3)
	v_fmamk_f32 v39, v7, 0x3f737871, v8
	v_fmac_f32_e32 v8, 0xbf737871, v7
	v_fmac_f32_e32 v35, 0xbf167918, v7
	v_fmac_f32_e32 v33, 0x3f737871, v10
	v_fmac_f32_e32 v32, 0x3f167918, v4
	v_sub_f32_e32 v14, v36, v41
	v_dual_fmac_f32 v26, 0xbf167918, v4 :: v_dual_fmac_f32 v39, 0xbf167918, v10
	s_delay_alu instid0(VALU_DEP_4) | instskip(NEXT) | instid1(VALU_DEP_4)
	v_fmac_f32_e32 v33, 0x3f167918, v7
	v_fmac_f32_e32 v32, 0x3e9e377a, v5
	v_add_f32_e32 v4, v6, v41
	v_dual_add_f32 v6, v11, v14 :: v_dual_add_f32 v11, v9, v12
	v_dual_fmac_f32 v26, 0x3e9e377a, v5 :: v_dual_sub_f32 v7, v27, v36
	v_sub_f32_e32 v5, v41, v36
	s_delay_alu instid0(VALU_DEP_4) | instskip(SKIP_3) | instid1(VALU_DEP_3)
	v_add_f32_e32 v37, v4, v36
	v_sub_f32_e32 v4, v40, v27
	v_dual_add_f32 v14, v13, v43 :: v_dual_fmac_f32 v35, 0x3e9e377a, v6
	v_fmac_f32_e32 v33, 0x3e9e377a, v6
	v_dual_add_f32 v27, v3, v92 :: v_dual_add_f32 v4, v4, v5
	v_add_f32_e32 v5, v11, v13
	s_delay_alu instid0(VALU_DEP_4) | instskip(SKIP_2) | instid1(VALU_DEP_4)
	v_fma_f32 v34, -0.5, v14, v9
	v_dual_sub_f32 v11, v12, v13 :: v_dual_fmac_f32 v8, 0x3f167918, v10
	v_sub_f32_e32 v14, v44, v43
	v_dual_add_f32 v5, v5, v43 :: v_dual_add_f32 v6, v12, v44
	v_dual_fmac_f32 v39, 0x3e9e377a, v4 :: v_dual_sub_f32 v10, v40, v41
	s_delay_alu instid0(VALU_DEP_4) | instskip(NEXT) | instid1(VALU_DEP_3)
	v_fmac_f32_e32 v8, 0x3e9e377a, v4
	v_dual_add_f32 v38, v5, v44 :: v_dual_add_f32 v5, v11, v14
	s_delay_alu instid0(VALU_DEP_4)
	v_dual_fmamk_f32 v36, v7, 0x3f737871, v34 :: v_dual_fmac_f32 v9, -0.5, v6
	v_sub_f32_e32 v4, v13, v12
	v_sub_f32_e32 v6, v43, v44
	v_dual_add_f32 v11, v46, v52 :: v_dual_add_f32 v12, v0, v42
	v_fmac_f32_e32 v34, 0xbf737871, v7
	v_add_f32_e32 v14, v42, v53
	v_dual_fmac_f32 v36, 0x3f167918, v10 :: v_dual_sub_f32 v13, v53, v52
	v_add_f32_e32 v6, v4, v6
	s_delay_alu instid0(VALU_DEP_4)
	v_fmac_f32_e32 v34, 0xbf167918, v10
	v_fma_f32 v4, -0.5, v11, v0
	v_dual_sub_f32 v11, v47, v95 :: v_dual_fmamk_f32 v40, v10, 0xbf737871, v9
	v_dual_fmac_f32 v9, 0x3f737871, v10 :: v_dual_sub_f32 v10, v54, v55
	v_fma_f32 v0, -0.5, v14, v0
	v_fmac_f32_e32 v36, 0x3e9e377a, v5
	s_delay_alu instid0(VALU_DEP_4) | instskip(NEXT) | instid1(VALU_DEP_4)
	v_fmamk_f32 v41, v11, 0xbf737871, v4
	v_fmac_f32_e32 v9, 0xbf167918, v7
	v_fmac_f32_e32 v34, 0x3e9e377a, v5
	v_fmamk_f32 v45, v10, 0x3f737871, v0
	v_add_f32_e32 v5, v12, v46
	v_sub_f32_e32 v12, v42, v46
	v_fmac_f32_e32 v41, 0xbf167918, v10
	v_fmac_f32_e32 v4, 0x3f737871, v11
	;; [unrolled: 1-line block ×3, first 2 shown]
	v_dual_add_f32 v5, v5, v52 :: v_dual_fmac_f32 v40, 0x3f167918, v7
	v_dual_add_f32 v7, v12, v13 :: v_dual_add_f32 v12, v1, v47
	v_add_f32_e32 v13, v54, v55
	s_delay_alu instid0(VALU_DEP_3) | instskip(SKIP_1) | instid1(VALU_DEP_4)
	v_add_f32_e32 v43, v5, v53
	v_sub_f32_e32 v5, v46, v42
	v_dual_fmac_f32 v41, 0x3e9e377a, v7 :: v_dual_fmac_f32 v40, 0x3e9e377a, v6
	v_dual_fmac_f32 v9, 0x3e9e377a, v6 :: v_dual_sub_f32 v6, v52, v53
	s_delay_alu instid0(VALU_DEP_1) | instskip(SKIP_2) | instid1(VALU_DEP_3)
	v_add_f32_e32 v6, v5, v6
	v_fma_f32 v5, -0.5, v13, v1
	v_sub_f32_e32 v13, v47, v54
	v_fmac_f32_e32 v45, 0x3e9e377a, v6
	v_fmac_f32_e32 v0, 0xbf737871, v10
	;; [unrolled: 1-line block ×3, first 2 shown]
	s_delay_alu instid0(VALU_DEP_2) | instskip(SKIP_2) | instid1(VALU_DEP_4)
	v_dual_fmac_f32 v0, 0x3f167918, v11 :: v_dual_sub_f32 v11, v46, v52
	v_add_f32_e32 v10, v12, v54
	v_sub_f32_e32 v12, v42, v53
	v_fmac_f32_e32 v4, 0x3e9e377a, v7
	v_sub_f32_e32 v52, v90, v88
	s_delay_alu instid0(VALU_DEP_3) | instskip(SKIP_1) | instid1(VALU_DEP_2)
	v_dual_sub_f32 v53, v94, v92 :: v_dual_fmamk_f32 v42, v12, 0x3f737871, v5
	v_fmac_f32_e32 v5, 0xbf737871, v12
	v_fmac_f32_e32 v42, 0x3f167918, v11
	s_delay_alu instid0(VALU_DEP_2) | instskip(SKIP_3) | instid1(VALU_DEP_2)
	v_fmac_f32_e32 v5, 0xbf167918, v11
	v_add_f32_e32 v7, v10, v55
	v_add_f32_e32 v10, v47, v95
	v_sub_f32_e32 v14, v95, v55
	v_fma_f32 v1, -0.5, v10, v1
	v_sub_f32_e32 v10, v55, v95
	s_delay_alu instid0(VALU_DEP_2)
	v_fmamk_f32 v46, v11, 0xbf737871, v1
	v_fmac_f32_e32 v1, 0x3f737871, v11
	v_add_f32_e32 v44, v7, v95
	v_sub_f32_e32 v7, v54, v47
	v_dual_add_f32 v11, v2, v96 :: v_dual_fmac_f32 v0, 0x3e9e377a, v6
	v_fmac_f32_e32 v46, 0x3f167918, v12
	v_fmac_f32_e32 v1, 0xbf167918, v12
	s_delay_alu instid0(VALU_DEP_4) | instskip(SKIP_3) | instid1(VALU_DEP_4)
	v_add_f32_e32 v7, v7, v10
	v_add_f32_e32 v6, v13, v14
	;; [unrolled: 1-line block ×3, first 2 shown]
	v_sub_f32_e32 v14, v96, v93
	v_dual_sub_f32 v47, v93, v97 :: v_dual_fmac_f32 v46, 0x3e9e377a, v7
	v_fmac_f32_e32 v1, 0x3e9e377a, v7
	s_delay_alu instid0(VALU_DEP_4)
	v_fma_f32 v10, -0.5, v13, v2
	v_sub_f32_e32 v13, v92, v90
	v_fmac_f32_e32 v42, 0x3e9e377a, v6
	v_dual_fmac_f32 v5, 0x3e9e377a, v6 :: v_dual_add_f32 v6, v11, v93
	v_sub_f32_e32 v11, v94, v88
	v_add_f32_e32 v14, v14, v15
	v_fma_f32 v2, -0.5, v23, v2
	v_sub_f32_e32 v15, v93, v96
	v_sub_f32_e32 v23, v97, v89
	v_fmamk_f32 v12, v13, 0xbf737871, v10
	v_dual_fmac_f32 v10, 0x3f737871, v13 :: v_dual_add_f32 v7, v94, v88
	s_delay_alu instid0(VALU_DEP_3) | instskip(NEXT) | instid1(VALU_DEP_3)
	v_add_f32_e32 v15, v15, v23
	v_fmac_f32_e32 v12, 0xbf167918, v11
	s_delay_alu instid0(VALU_DEP_3) | instskip(SKIP_1) | instid1(VALU_DEP_3)
	v_dual_fmac_f32 v10, 0x3f167918, v11 :: v_dual_add_f32 v23, v27, v94
	v_dual_add_f32 v27, v92, v90 :: v_dual_add_f32 v6, v6, v97
	v_fmac_f32_e32 v12, 0x3e9e377a, v14
	s_delay_alu instid0(VALU_DEP_3)
	v_fmac_f32_e32 v10, 0x3e9e377a, v14
	v_fmamk_f32 v14, v11, 0x3f737871, v2
	v_fmac_f32_e32 v2, 0xbf737871, v11
	v_fma_f32 v11, -0.5, v7, v3
	v_sub_f32_e32 v7, v96, v89
	v_dual_add_f32 v23, v23, v88 :: v_dual_add_f32 v6, v6, v89
	v_dual_fmac_f32 v3, -0.5, v27 :: v_dual_fmac_f32 v14, 0xbf167918, v13
	v_fmac_f32_e32 v2, 0x3f167918, v13
	s_delay_alu instid0(VALU_DEP_4) | instskip(SKIP_2) | instid1(VALU_DEP_3)
	v_fmamk_f32 v13, v7, 0x3f737871, v11
	v_fmac_f32_e32 v11, 0xbf737871, v7
	v_sub_f32_e32 v27, v92, v94
	v_dual_sub_f32 v54, v88, v90 :: v_dual_fmac_f32 v13, 0x3f167918, v47
	v_fmac_f32_e32 v2, 0x3e9e377a, v15
	s_delay_alu instid0(VALU_DEP_4) | instskip(SKIP_4) | instid1(VALU_DEP_3)
	v_fmac_f32_e32 v11, 0xbf167918, v47
	v_fmac_f32_e32 v14, 0x3e9e377a, v15
	v_fmamk_f32 v15, v47, 0xbf737871, v3
	v_fmac_f32_e32 v3, 0x3f737871, v47
	v_add_f32_e32 v27, v27, v52
	v_fmac_f32_e32 v15, 0x3f167918, v7
	v_add_f32_e32 v47, v53, v54
	s_delay_alu instid0(VALU_DEP_4)
	v_fmac_f32_e32 v3, 0xbf167918, v7
	v_add_f32_e32 v7, v23, v90
	v_fmac_f32_e32 v13, 0x3e9e377a, v27
	v_fmac_f32_e32 v11, 0x3e9e377a, v27
	;; [unrolled: 1-line block ×4, first 2 shown]
	ds_store_2addr_b64 v237, v[29:30], v[18:19] offset1:36
	ds_store_2addr_b64 v237, v[31:32], v[25:26] offset0:72 offset1:108
	ds_store_b64 v237, v[16:17] offset:1152
	ds_store_2addr_b64 v238, v[37:38], v[35:36] offset1:36
	ds_store_2addr_b64 v238, v[39:40], v[8:9] offset0:72 offset1:108
	ds_store_b64 v238, v[33:34] offset:1152
	;; [unrolled: 3-line block ×4, first 2 shown]
	global_wb scope:SCOPE_SE
	s_wait_dscnt 0x0
	s_barrier_signal -1
	s_barrier_wait -1
	global_inv scope:SCOPE_SE
	ds_load_2addr_b64 v[16:19], v199 offset1:63
	ds_load_2addr_b64 v[40:43], v199 offset0:180 offset1:243
	ds_load_2addr_b64 v[32:35], v21 offset0:104 offset1:167
	;; [unrolled: 1-line block ×6, first 2 shown]
	s_and_saveexec_b32 s1, s0
	s_cbranch_execz .LBB0_23
; %bb.22:
	v_add_nc_u32_e32 v0, 0x1a00, v199
	ds_load_2addr_b64 v[8:11], v0 offset0:14 offset1:194
	v_add_nc_u32_e32 v1, 0x200, v199
	v_add_nc_u32_e32 v0, 0xe00, v199
	s_wait_dscnt 0x0
	v_mov_b32_e32 v2, v8
	ds_load_b64 v[104:105], v199 offset:9648
	ds_load_2addr_b64 v[4:7], v1 offset0:62 offset1:242
	ds_load_2addr_b64 v[12:15], v0 offset0:38 offset1:218
	v_mov_b32_e32 v3, v9
.LBB0_23:
	s_wait_alu 0xfffe
	s_or_b32 exec_lo, exec_lo, s1
	s_wait_dscnt 0x4
	v_dual_mul_f32 v0, v57, v41 :: v_dual_mul_f32 v9, v59, v32
	v_dual_mul_f32 v1, v57, v40 :: v_dual_mul_f32 v8, v59, v33
	s_delay_alu instid0(VALU_DEP_2) | instskip(NEXT) | instid1(VALU_DEP_3)
	v_fmac_f32_e32 v0, v56, v40
	v_fma_f32 v9, v58, v33, -v9
	s_wait_dscnt 0x2
	v_dual_mul_f32 v33, v81, v36 :: v_dual_mul_f32 v40, v83, v21
	v_fma_f32 v1, v56, v41, -v1
	v_fmac_f32_e32 v8, v58, v32
	v_dual_mul_f32 v32, v81, v37 :: v_dual_mul_f32 v41, v83, v20
	s_delay_alu instid0(VALU_DEP_4)
	v_fma_f32 v33, v80, v37, -v33
	v_mul_f32_e32 v37, v69, v43
	s_wait_dscnt 0x1
	v_mul_f32_e32 v44, v85, v25
	v_fmac_f32_e32 v40, v82, v20
	v_fma_f32 v20, v82, v21, -v41
	v_mul_f32_e32 v21, v85, v24
	v_mul_f32_e32 v41, v69, v42
	v_fmac_f32_e32 v37, v68, v42
	v_fmac_f32_e32 v44, v84, v24
	s_wait_dscnt 0x0
	v_mul_f32_e32 v24, v87, v29
	v_fmac_f32_e32 v32, v80, v36
	v_mul_f32_e32 v36, v87, v28
	v_fma_f32 v21, v84, v25, -v21
	v_mul_f32_e32 v42, v73, v38
	v_fmac_f32_e32 v24, v86, v28
	v_fma_f32 v28, v68, v43, -v41
	v_mul_f32_e32 v43, v75, v23
	v_fma_f32 v25, v86, v29, -v36
	v_mul_f32_e32 v29, v71, v35
	v_dual_mul_f32 v36, v71, v34 :: v_dual_mul_f32 v41, v73, v39
	s_delay_alu instid0(VALU_DEP_4) | instskip(SKIP_1) | instid1(VALU_DEP_4)
	v_fmac_f32_e32 v43, v74, v22
	v_mul_f32_e32 v22, v75, v22
	v_fmac_f32_e32 v29, v70, v34
	s_delay_alu instid0(VALU_DEP_4) | instskip(SKIP_1) | instid1(VALU_DEP_4)
	v_fmac_f32_e32 v41, v72, v38
	v_mul_f32_e32 v38, v77, v26
	v_fma_f32 v45, v74, v23, -v22
	v_add_f32_e32 v23, v1, v25
	v_fma_f32 v34, v70, v35, -v36
	v_fma_f32 v35, v72, v39, -v42
	v_mul_f32_e32 v36, v77, v27
	v_mul_f32_e32 v39, v79, v31
	;; [unrolled: 1-line block ×3, first 2 shown]
	v_dual_add_f32 v22, v0, v24 :: v_dual_sub_f32 v1, v1, v25
	s_delay_alu instid0(VALU_DEP_4)
	v_dual_add_f32 v25, v9, v21 :: v_dual_fmac_f32 v36, v76, v26
	v_sub_f32_e32 v9, v9, v21
	v_dual_fmac_f32 v39, v78, v30 :: v_dual_add_f32 v26, v33, v20
	v_sub_f32_e32 v0, v0, v24
	v_add_f32_e32 v24, v8, v44
	v_fma_f32 v30, v78, v31, -v42
	v_add_f32_e32 v21, v32, v40
	v_fma_f32 v38, v76, v27, -v38
	v_dual_sub_f32 v27, v40, v32 :: v_dual_add_f32 v32, v25, v23
	v_dual_sub_f32 v40, v25, v23 :: v_dual_sub_f32 v25, v26, v25
	v_add_f32_e32 v31, v24, v22
	v_dual_sub_f32 v8, v8, v44 :: v_dual_sub_f32 v23, v23, v26
	v_sub_f32_e32 v20, v20, v33
	v_dual_sub_f32 v33, v24, v22 :: v_dual_sub_f32 v22, v22, v21
	v_sub_f32_e32 v24, v21, v24
	s_delay_alu instid0(VALU_DEP_4) | instskip(SKIP_2) | instid1(VALU_DEP_3)
	v_dual_add_f32 v21, v21, v31 :: v_dual_add_f32 v42, v27, v8
	v_dual_sub_f32 v46, v27, v8 :: v_dual_sub_f32 v27, v0, v27
	v_add_f32_e32 v26, v26, v32
	v_dual_add_f32 v31, v42, v0 :: v_dual_add_f32 v44, v20, v9
	v_sub_f32_e32 v47, v20, v9
	v_dual_sub_f32 v9, v9, v1 :: v_dual_sub_f32 v8, v8, v0
	v_add_f32_e32 v0, v16, v21
	v_sub_f32_e32 v20, v1, v20
	s_delay_alu instid0(VALU_DEP_2) | instskip(SKIP_4) | instid1(VALU_DEP_4)
	v_dual_add_f32 v32, v44, v1 :: v_dual_fmamk_f32 v21, v21, 0xbf955555, v0
	v_add_f32_e32 v1, v17, v26
	v_mul_f32_e32 v17, 0x3f4a47b2, v23
	v_mul_f32_e32 v23, 0x3d64c772, v25
	v_mul_f32_e32 v16, 0x3f4a47b2, v22
	v_fmamk_f32 v26, v26, 0xbf955555, v1
	s_delay_alu instid0(VALU_DEP_4)
	v_fmamk_f32 v25, v25, 0x3d64c772, v17
	v_fma_f32 v17, 0xbf3bfb3b, v40, -v17
	v_mul_f32_e32 v44, 0x3f08b237, v47
	v_mul_f32_e32 v47, 0xbf5ff5aa, v9
	v_fma_f32 v23, 0x3f3bfb3b, v40, -v23
	v_mul_f32_e32 v22, 0x3d64c772, v24
	v_add_f32_e32 v52, v25, v26
	v_mul_f32_e32 v42, 0x3f08b237, v46
	v_dual_add_f32 v25, v17, v26 :: v_dual_mul_f32 v46, 0xbf5ff5aa, v8
	v_dual_add_f32 v23, v23, v26 :: v_dual_fmamk_f32 v24, v24, 0x3d64c772, v16
	v_fma_f32 v22, 0x3f3bfb3b, v33, -v22
	v_fma_f32 v16, 0xbf3bfb3b, v33, -v16
	v_fmamk_f32 v33, v27, 0xbeae86e6, v42
	v_fma_f32 v27, 0x3eae86e6, v27, -v46
	v_fma_f32 v46, 0x3eae86e6, v20, -v47
	v_add_f32_e32 v22, v22, v21
	v_add_f32_e32 v47, v24, v21
	v_fmac_f32_e32 v33, 0xbee1c552, v31
	v_fmac_f32_e32 v27, 0xbee1c552, v31
	v_fmamk_f32 v40, v20, 0xbeae86e6, v44
	v_fma_f32 v44, 0xbf5ff5aa, v9, -v44
	v_add_f32_e32 v24, v16, v21
	v_dual_fmac_f32 v46, 0xbee1c552, v32 :: v_dual_sub_f32 v9, v52, v33
	v_fma_f32 v42, 0xbf5ff5aa, v8, -v42
	v_sub_f32_e32 v17, v25, v27
	v_dual_add_f32 v25, v27, v25 :: v_dual_fmac_f32 v40, 0xbee1c552, v32
	v_fmac_f32_e32 v44, 0xbee1c552, v32
	s_delay_alu instid0(VALU_DEP_4) | instskip(SKIP_1) | instid1(VALU_DEP_4)
	v_dual_fmac_f32 v42, 0xbee1c552, v31 :: v_dual_add_f32 v27, v33, v52
	v_add_f32_e32 v31, v37, v39
	v_add_f32_e32 v8, v40, v47
	v_dual_add_f32 v32, v28, v30 :: v_dual_sub_f32 v33, v37, v39
	v_add_f32_e32 v16, v46, v24
	v_add_f32_e32 v37, v34, v38
	v_dual_sub_f32 v39, v43, v41 :: v_dual_sub_f32 v28, v28, v30
	v_sub_f32_e32 v34, v34, v38
	v_dual_add_f32 v38, v35, v45 :: v_dual_sub_f32 v35, v45, v35
	v_add_f32_e32 v30, v29, v36
	v_sub_f32_e32 v29, v29, v36
	v_add_f32_e32 v36, v41, v43
	v_add_f32_e32 v21, v42, v23
	v_sub_f32_e32 v23, v23, v42
	v_sub_f32_e32 v26, v47, v40
	v_dual_sub_f32 v47, v35, v34 :: v_dual_add_f32 v40, v30, v31
	v_dual_sub_f32 v42, v30, v31 :: v_dual_sub_f32 v31, v31, v36
	v_dual_sub_f32 v20, v22, v44 :: v_dual_add_f32 v45, v35, v34
	v_dual_add_f32 v22, v44, v22 :: v_dual_add_f32 v41, v37, v32
	v_dual_sub_f32 v24, v24, v46 :: v_dual_sub_f32 v43, v37, v32
	s_delay_alu instid0(VALU_DEP_4) | instskip(SKIP_3) | instid1(VALU_DEP_3)
	v_mul_f32_e32 v31, 0x3f4a47b2, v31
	v_dual_sub_f32 v37, v38, v37 :: v_dual_sub_f32 v32, v32, v38
	v_add_f32_e32 v44, v39, v29
	v_add_f32_e32 v38, v38, v41
	v_mul_f32_e32 v41, 0x3d64c772, v37
	s_delay_alu instid0(VALU_DEP_4) | instskip(SKIP_3) | instid1(VALU_DEP_4)
	v_mul_f32_e32 v32, 0x3f4a47b2, v32
	v_dual_sub_f32 v46, v39, v29 :: v_dual_sub_f32 v39, v33, v39
	v_sub_f32_e32 v35, v28, v35
	v_sub_f32_e32 v29, v29, v33
	v_dual_fmamk_f32 v37, v37, 0x3d64c772, v32 :: v_dual_sub_f32 v34, v34, v28
	v_add_f32_e32 v33, v44, v33
	v_sub_f32_e32 v30, v36, v30
	v_dual_add_f32 v28, v45, v28 :: v_dual_mul_f32 v45, 0x3f08b237, v47
	v_add_f32_e32 v36, v36, v40
	v_fma_f32 v41, 0x3f3bfb3b, v43, -v41
	s_delay_alu instid0(VALU_DEP_4) | instskip(SKIP_1) | instid1(VALU_DEP_4)
	v_mul_f32_e32 v40, 0x3d64c772, v30
	v_fma_f32 v32, 0xbf3bfb3b, v43, -v32
	v_dual_fmamk_f32 v43, v35, 0xbeae86e6, v45 :: v_dual_add_f32 v18, v18, v36
	v_add_f32_e32 v19, v19, v38
	v_mul_f32_e32 v47, 0xbf5ff5aa, v34
	v_fma_f32 v40, 0x3f3bfb3b, v42, -v40
	v_fma_f32 v34, 0xbf5ff5aa, v34, -v45
	v_fmamk_f32 v36, v36, 0xbf955555, v18
	v_fmamk_f32 v30, v30, 0x3d64c772, v31
	v_fma_f32 v45, 0x3eae86e6, v35, -v47
	v_fma_f32 v31, 0xbf3bfb3b, v42, -v31
	s_delay_alu instid0(VALU_DEP_4) | instskip(NEXT) | instid1(VALU_DEP_1)
	v_dual_add_f32 v35, v40, v36 :: v_dual_fmamk_f32 v38, v38, 0xbf955555, v19
	v_add_f32_e32 v47, v37, v38
	v_mul_f32_e32 v44, 0x3f08b237, v46
	s_delay_alu instid0(VALU_DEP_1) | instskip(SKIP_1) | instid1(VALU_DEP_1)
	v_dual_add_f32 v37, v41, v38 :: v_dual_fmamk_f32 v42, v39, 0xbeae86e6, v44
	v_fma_f32 v44, 0xbf5ff5aa, v29, -v44
	v_fmac_f32_e32 v44, 0xbee1c552, v33
	v_mul_f32_e32 v46, 0xbf5ff5aa, v29
	s_delay_alu instid0(VALU_DEP_1) | instskip(NEXT) | instid1(VALU_DEP_1)
	v_fma_f32 v39, 0x3eae86e6, v39, -v46
	v_fmac_f32_e32 v39, 0xbee1c552, v33
	v_dual_fmac_f32 v42, 0xbee1c552, v33 :: v_dual_fmac_f32 v45, 0xbee1c552, v28
	v_dual_fmac_f32 v34, 0xbee1c552, v28 :: v_dual_add_f32 v33, v44, v37
	v_dual_add_f32 v38, v32, v38 :: v_dual_fmac_f32 v43, 0xbee1c552, v28
	s_delay_alu instid0(VALU_DEP_3) | instskip(NEXT) | instid1(VALU_DEP_3)
	v_sub_f32_e32 v29, v47, v42
	v_sub_f32_e32 v32, v35, v34
	v_dual_add_f32 v34, v34, v35 :: v_dual_sub_f32 v35, v37, v44
	s_delay_alu instid0(VALU_DEP_4) | instskip(SKIP_1) | instid1(VALU_DEP_2)
	v_dual_add_f32 v37, v39, v38 :: v_dual_add_f32 v46, v30, v36
	v_dual_add_f32 v36, v31, v36 :: v_dual_sub_f32 v31, v38, v39
	v_dual_add_f32 v39, v42, v47 :: v_dual_add_f32 v28, v43, v46
	s_delay_alu instid0(VALU_DEP_2)
	v_add_f32_e32 v30, v45, v36
	v_sub_f32_e32 v36, v36, v45
	v_sub_f32_e32 v38, v46, v43
	ds_store_b64 v199, v[8:9] offset:1440
	ds_store_b64 v199, v[16:17] offset:2880
	;; [unrolled: 1-line block ×6, first 2 shown]
	ds_store_2addr_b64 v199, v[0:1], v[18:19] offset1:63
	ds_store_b64 v199, v[28:29] offset:1944
	ds_store_b64 v199, v[30:31] offset:3384
	;; [unrolled: 1-line block ×6, first 2 shown]
	s_and_saveexec_b32 s1, s0
	s_cbranch_execz .LBB0_25
; %bb.24:
	v_dual_mul_f32 v8, v61, v15 :: v_dual_mul_f32 v17, v67, v105
	v_dual_mul_f32 v0, v49, v7 :: v_dual_mul_f32 v9, v51, v13
	s_delay_alu instid0(VALU_DEP_2) | instskip(SKIP_1) | instid1(VALU_DEP_3)
	v_dual_mul_f32 v1, v63, v3 :: v_dual_fmac_f32 v8, v60, v14
	v_mul_f32_e32 v16, v65, v11
	v_dual_fmac_f32 v0, v48, v6 :: v_dual_fmac_f32 v17, v66, v104
	s_delay_alu instid0(VALU_DEP_3) | instskip(NEXT) | instid1(VALU_DEP_3)
	v_fmac_f32_e32 v1, v62, v2
	v_dual_fmac_f32 v9, v50, v12 :: v_dual_fmac_f32 v16, v64, v10
	s_delay_alu instid0(VALU_DEP_3) | instskip(SKIP_1) | instid1(VALU_DEP_4)
	v_dual_mul_f32 v2, v63, v2 :: v_dual_sub_f32 v21, v0, v17
	v_add_f32_e32 v17, v17, v0
	v_sub_f32_e32 v18, v1, v8
	s_delay_alu instid0(VALU_DEP_4) | instskip(SKIP_3) | instid1(VALU_DEP_4)
	v_sub_f32_e32 v19, v9, v16
	v_mul_f32_e32 v20, v67, v104
	v_fma_f32 v2, v62, v3, -v2
	v_add_f32_e32 v9, v16, v9
	v_dual_sub_f32 v23, v21, v18 :: v_dual_sub_f32 v22, v18, v19
	v_mul_f32_e32 v6, v49, v6
	v_fma_f32 v20, v66, v105, -v20
	s_delay_alu instid0(VALU_DEP_2) | instskip(SKIP_3) | instid1(VALU_DEP_3)
	v_fma_f32 v6, v48, v7, -v6
	v_mul_f32_e32 v7, v61, v14
	v_mul_f32_e32 v22, 0x3f08b237, v22
	;; [unrolled: 1-line block ×3, first 2 shown]
	v_fma_f32 v7, v60, v15, -v7
	s_delay_alu instid0(VALU_DEP_3) | instskip(NEXT) | instid1(VALU_DEP_2)
	v_dual_fmamk_f32 v15, v23, 0xbeae86e6, v22 :: v_dual_mul_f32 v10, v65, v10
	v_dual_add_f32 v3, v7, v2 :: v_dual_sub_f32 v2, v2, v7
	s_delay_alu instid0(VALU_DEP_2) | instskip(SKIP_2) | instid1(VALU_DEP_2)
	v_fma_f32 v10, v64, v11, -v10
	v_fma_f32 v11, v50, v13, -v12
	v_dual_add_f32 v13, v20, v6 :: v_dual_add_f32 v12, v18, v19
	v_dual_sub_f32 v19, v19, v21 :: v_dual_add_f32 v14, v10, v11
	s_delay_alu instid0(VALU_DEP_2) | instskip(NEXT) | instid1(VALU_DEP_2)
	v_dual_sub_f32 v24, v13, v3 :: v_dual_sub_f32 v7, v11, v10
	v_add_f32_e32 v18, v14, v13
	v_dual_sub_f32 v0, v3, v14 :: v_dual_sub_f32 v13, v14, v13
	s_delay_alu instid0(VALU_DEP_2) | instskip(SKIP_1) | instid1(VALU_DEP_3)
	v_add_f32_e32 v18, v3, v18
	v_add_f32_e32 v12, v12, v21
	v_dual_add_f32 v3, v8, v1 :: v_dual_mul_f32 v8, 0x3d64c772, v0
	s_delay_alu instid0(VALU_DEP_3) | instskip(SKIP_1) | instid1(VALU_DEP_3)
	v_add_f32_e32 v1, v5, v18
	v_add_f32_e32 v5, v9, v17
	v_dual_sub_f32 v11, v3, v9 :: v_dual_mul_f32 v16, 0x3f4a47b2, v24
	v_fmac_f32_e32 v15, 0xbee1c552, v12
	v_sub_f32_e32 v9, v9, v17
	s_delay_alu instid0(VALU_DEP_3) | instskip(SKIP_1) | instid1(VALU_DEP_1)
	v_dual_add_f32 v5, v3, v5 :: v_dual_fmamk_f32 v24, v0, 0x3d64c772, v16
	v_sub_f32_e32 v0, v17, v3
	v_dual_sub_f32 v3, v2, v7 :: v_dual_mul_f32 v10, 0x3f4a47b2, v0
	s_delay_alu instid0(VALU_DEP_1) | instskip(SKIP_1) | instid1(VALU_DEP_2)
	v_dual_add_f32 v0, v4, v5 :: v_dual_mul_f32 v25, 0x3f08b237, v3
	v_fmamk_f32 v18, v18, 0xbf955555, v1
	v_dual_sub_f32 v4, v6, v20 :: v_dual_fmamk_f32 v5, v5, 0xbf955555, v0
	s_delay_alu instid0(VALU_DEP_4) | instskip(NEXT) | instid1(VALU_DEP_3)
	v_fmamk_f32 v6, v11, 0x3d64c772, v10
	v_dual_add_f32 v20, v24, v18 :: v_dual_mul_f32 v11, 0x3d64c772, v11
	s_delay_alu instid0(VALU_DEP_2) | instskip(NEXT) | instid1(VALU_DEP_2)
	v_dual_add_f32 v21, v6, v5 :: v_dual_mul_f32 v6, 0xbf5ff5aa, v19
	v_add_f32_e32 v3, v15, v20
	s_delay_alu instid0(VALU_DEP_2) | instskip(SKIP_3) | instid1(VALU_DEP_4)
	v_fma_f32 v17, 0x3eae86e6, v23, -v6
	v_sub_f32_e32 v24, v4, v2
	v_add_f32_e32 v2, v2, v7
	v_fma_f32 v6, 0xbf3bfb3b, v13, -v16
	v_fmac_f32_e32 v17, 0xbee1c552, v12
	s_delay_alu instid0(VALU_DEP_3)
	v_add_f32_e32 v2, v2, v4
	v_sub_f32_e32 v14, v7, v4
	v_fma_f32 v4, 0x3f3bfb3b, v13, -v8
	v_fma_f32 v8, 0xbf5ff5aa, v19, -v22
	v_fma_f32 v7, 0xbf3bfb3b, v9, -v10
	v_add_f32_e32 v16, v6, v18
	v_fma_f32 v13, 0xbf5ff5aa, v14, -v25
	v_fma_f32 v6, 0x3f3bfb3b, v9, -v11
	v_dual_add_f32 v9, v4, v18 :: v_dual_fmac_f32 v8, 0xbee1c552, v12
	v_dual_fmamk_f32 v26, v24, 0xbeae86e6, v25 :: v_dual_add_f32 v23, v7, v5
	s_delay_alu instid0(VALU_DEP_3) | instskip(NEXT) | instid1(VALU_DEP_3)
	v_add_f32_e32 v11, v6, v5
	v_sub_f32_e32 v7, v9, v8
	v_add_f32_e32 v9, v8, v9
	v_fmac_f32_e32 v13, 0xbee1c552, v2
	v_mul_f32_e32 v10, 0xbf5ff5aa, v14
	v_fmac_f32_e32 v26, 0xbee1c552, v2
	v_add_nc_u32_e32 v14, 0x200, v199
	s_delay_alu instid0(VALU_DEP_4) | instskip(NEXT) | instid1(VALU_DEP_4)
	v_add_f32_e32 v6, v13, v11
	v_fma_f32 v10, 0x3eae86e6, v24, -v10
	v_dual_sub_f32 v8, v11, v13 :: v_dual_sub_f32 v13, v20, v15
	v_add_f32_e32 v12, v26, v21
	s_delay_alu instid0(VALU_DEP_3) | instskip(SKIP_3) | instid1(VALU_DEP_4)
	v_dual_sub_f32 v11, v16, v17 :: v_dual_fmac_f32 v10, 0xbee1c552, v2
	v_add_nc_u32_e32 v15, 0xe00, v199
	v_dual_add_f32 v5, v17, v16 :: v_dual_add_nc_u32 v16, 0x1a00, v199
	v_sub_f32_e32 v2, v21, v26
	v_sub_f32_e32 v4, v23, v10
	v_add_f32_e32 v10, v10, v23
	ds_store_2addr_b64 v14, v[0:1], v[12:13] offset0:62 offset1:242
	ds_store_2addr_b64 v15, v[10:11], v[8:9] offset0:38 offset1:218
	;; [unrolled: 1-line block ×3, first 2 shown]
	ds_store_b64 v199, v[2:3] offset:9648
.LBB0_25:
	s_wait_alu 0xfffe
	s_or_b32 exec_lo, exec_lo, s1
	global_wb scope:SCOPE_SE
	s_wait_dscnt 0x0
	s_barrier_signal -1
	s_barrier_wait -1
	global_inv scope:SCOPE_SE
	ds_load_2addr_b64 v[0:3], v199 offset1:63
	v_add_nc_u32_e32 v8, 0x1000, v199
	v_add_nc_u32_e32 v12, 0x1400, v199
	v_mad_co_u64_u32 v[30:31], null, s6, v146, 0
	v_mad_co_u64_u32 v[32:33], null, s4, v200, 0
	s_mov_b32 s8, 0x1a01a01a
	s_mov_b32 s9, 0x3f4a01a0
	v_add_nc_u32_e32 v47, 0x1800, v199
	s_mul_u64 s[0:1], s[4:5], 0x13b0
	s_delay_alu instid0(VALU_DEP_2)
	v_mad_co_u64_u32 v[34:35], null, s7, v146, v[31:32]
	s_movk_i32 s6, 0xee48
	s_mov_b32 s7, -1
	s_wait_dscnt 0x0
	v_mul_f32_e32 v17, v176, v0
	ds_load_2addr_b64 v[4:7], v199 offset0:126 offset1:189
	ds_load_2addr_b64 v[8:11], v8 offset0:118 offset1:181
	v_mul_f32_e32 v19, v174, v2
	ds_load_2addr_b64 v[12:15], v12 offset0:116 offset1:179
	v_mul_f32_e32 v18, v174, v3
	v_mul_f32_e32 v16, v176, v1
	s_delay_alu instid0(VALU_DEP_1)
	v_fmac_f32_e32 v16, v175, v0
	v_fma_f32 v0, v175, v1, -v17
	s_wait_dscnt 0x2
	v_mul_f32_e32 v21, v180, v4
	s_wait_dscnt 0x1
	v_mul_f32_e32 v1, v170, v9
	v_mul_f32_e32 v22, v170, v8
	s_wait_dscnt 0x0
	v_dual_fmac_f32 v18, v173, v2 :: v_dual_mul_f32 v39, v168, v12
	v_fma_f32 v2, v173, v3, -v19
	v_mul_f32_e32 v3, v172, v11
	v_mul_f32_e32 v20, v180, v5
	v_fma_f32 v21, v179, v5, -v21
	v_fmac_f32_e32 v1, v169, v8
	v_mul_f32_e32 v37, v166, v6
	v_fmac_f32_e32 v3, v171, v10
	v_dual_mul_f32 v23, v172, v10 :: v_dual_fmac_f32 v20, v179, v4
	v_cvt_f64_f32_e32 v[4:5], v16
	v_cvt_f64_f32_e32 v[16:17], v0
	v_fma_f32 v0, v169, v9, -v22
	v_cvt_f64_f32_e32 v[8:9], v18
	v_cvt_f64_f32_e32 v[18:19], v2
	v_fma_f32 v2, v171, v11, -v23
	v_cvt_f64_f32_e32 v[22:23], v1
	v_cvt_f64_f32_e32 v[24:25], v0
	v_add_nc_u32_e32 v0, 0x400, v199
	v_cvt_f64_f32_e32 v[26:27], v3
	v_cvt_f64_f32_e32 v[28:29], v2
	;; [unrolled: 1-line block ×4, first 2 shown]
	ds_load_2addr_b64 v[0:3], v0 offset0:124 offset1:187
	v_mul_f32_e32 v40, v164, v14
	v_fma_f32 v31, v165, v7, -v37
	s_wait_dscnt 0x0
	v_mul_f32_e32 v41, v178, v1
	v_mul_f32_e32 v38, v168, v13
	;; [unrolled: 1-line block ×3, first 2 shown]
	s_delay_alu instid0(VALU_DEP_3) | instskip(NEXT) | instid1(VALU_DEP_3)
	v_fmac_f32_e32 v41, v177, v0
	v_fmac_f32_e32 v38, v167, v12
	v_fma_f32 v12, v167, v13, -v39
	v_mul_f32_e32 v39, v164, v15
	v_mul_f32_e32 v36, v166, v7
	s_wait_alu 0xfffe
	v_mul_f64_e32 v[4:5], s[8:9], v[4:5]
	v_mul_f64_e32 v[16:17], s[8:9], v[16:17]
	;; [unrolled: 1-line block ×3, first 2 shown]
	v_fmac_f32_e32 v39, v163, v14
	v_fmac_f32_e32 v36, v165, v6
	v_cvt_f64_f32_e32 v[6:7], v38
	v_cvt_f64_f32_e32 v[37:38], v31
	v_fma_f32 v31, v163, v15, -v40
	v_mul_f64_e32 v[24:25], s[8:9], v[24:25]
	v_cvt_f64_f32_e32 v[14:15], v39
	v_mul_f64_e32 v[8:9], s[8:9], v[8:9]
	v_mul_f64_e32 v[18:19], s[8:9], v[18:19]
	v_cvt_f64_f32_e32 v[39:40], v31
	v_mov_b32_e32 v31, v34
	v_cvt_f64_f32_e32 v[35:36], v36
	v_mul_f64_e32 v[26:27], s[8:9], v[26:27]
	v_mul_f64_e32 v[28:29], s[8:9], v[28:29]
	;; [unrolled: 1-line block ×4, first 2 shown]
	v_fma_f32 v43, v177, v1, -v42
	v_cvt_f64_f32_e32 v[41:42], v41
	v_mad_co_u64_u32 v[0:1], null, s5, v200, v[33:34]
	v_cvt_f64_f32_e32 v[12:13], v12
	s_delay_alu instid0(VALU_DEP_4) | instskip(NEXT) | instid1(VALU_DEP_3)
	v_cvt_f64_f32_e32 v[43:44], v43
	v_mov_b32_e32 v33, v0
	v_lshlrev_b64_e32 v[0:1], 3, v[30:31]
	s_delay_alu instid0(VALU_DEP_2) | instskip(SKIP_1) | instid1(VALU_DEP_3)
	v_lshlrev_b64_e32 v[30:31], 3, v[32:33]
	v_cvt_f32_f64_e32 v45, v[4:5]
	v_add_co_u32 v4, vcc_lo, s2, v0
	v_cvt_f32_f64_e32 v46, v[16:17]
	v_cvt_f32_f64_e32 v16, v[22:23]
	s_wait_alu 0xfffd
	v_add_co_ci_u32_e32 v5, vcc_lo, s3, v1, vcc_lo
	v_add_co_u32 v22, vcc_lo, v4, v30
	v_cvt_f32_f64_e32 v17, v[24:25]
	v_cvt_f32_f64_e32 v8, v[8:9]
	;; [unrolled: 1-line block ×3, first 2 shown]
	s_wait_alu 0xfffd
	v_add_co_ci_u32_e32 v23, vcc_lo, v5, v31, vcc_lo
	v_mul_f64_e32 v[0:1], s[8:9], v[35:36]
	v_cvt_f32_f64_e32 v18, v[26:27]
	v_cvt_f32_f64_e32 v19, v[28:29]
	;; [unrolled: 1-line block ×4, first 2 shown]
	v_mul_f64_e32 v[32:33], s[8:9], v[6:7]
	ds_load_2addr_b64 v[4:7], v47 offset0:114 offset1:177
	v_add_co_u32 v30, vcc_lo, v22, s0
	v_mul_f64_e32 v[26:27], s[8:9], v[41:42]
	v_mul_f64_e32 v[28:29], s[8:9], v[43:44]
	s_wait_alu 0xfffd
	v_add_co_ci_u32_e32 v31, vcc_lo, s1, v23, vcc_lo
	s_mul_u64 s[2:3], s[4:5], s[6:7]
	v_mul_f64_e32 v[12:13], s[8:9], v[12:13]
	s_wait_alu 0xfffe
	v_add_co_u32 v34, vcc_lo, v30, s2
	v_mul_f64_e32 v[20:21], s[8:9], v[37:38]
	v_mul_f64_e32 v[14:15], s[8:9], v[14:15]
	s_wait_alu 0xfffd
	v_add_co_ci_u32_e32 v35, vcc_lo, s3, v31, vcc_lo
	v_add_co_u32 v36, vcc_lo, v34, s0
	v_mul_f64_e32 v[24:25], s[8:9], v[39:40]
	s_wait_alu 0xfffd
	s_delay_alu instid0(VALU_DEP_3) | instskip(SKIP_3) | instid1(VALU_DEP_3)
	v_add_co_ci_u32_e32 v37, vcc_lo, s1, v35, vcc_lo
	v_add_nc_u32_e32 v40, 0x800, v199
	v_add_co_u32 v38, vcc_lo, v36, s2
	s_wait_alu 0xfffd
	v_add_co_ci_u32_e32 v39, vcc_lo, s3, v37, vcc_lo
	s_clause 0x4
	global_store_b64 v[22:23], v[45:46], off
	global_store_b64 v[30:31], v[16:17], off
	;; [unrolled: 1-line block ×5, first 2 shown]
	v_cvt_f32_f64_e32 v18, v[0:1]
	s_wait_dscnt 0x0
	v_mul_f32_e32 v1, v152, v4
	ds_load_2addr_b64 v[8:11], v40 offset0:122 offset1:185
	v_mul_f32_e32 v0, v152, v5
	v_cvt_f32_f64_e32 v32, v[32:33]
	v_add_co_u32 v16, vcc_lo, v38, s0
	v_fma_f32 v1, v151, v5, -v1
	v_cvt_f32_f64_e32 v22, v[26:27]
	v_cvt_f32_f64_e32 v23, v[28:29]
	v_mul_f32_e32 v28, v158, v3
	v_dual_fmac_f32 v0, v151, v4 :: v_dual_mul_f32 v5, v158, v2
	v_cvt_f64_f32_e32 v[26:27], v1
	v_mul_f32_e32 v1, v156, v7
	v_add_nc_u32_e32 v4, 0x1c00, v199
	v_cvt_f32_f64_e32 v33, v[12:13]
	v_cvt_f32_f64_e32 v19, v[20:21]
	;; [unrolled: 1-line block ×3, first 2 shown]
	v_fmac_f32_e32 v1, v155, v6
	ds_load_2addr_b64 v[12:15], v4 offset0:112 offset1:175
	s_wait_alu 0xfffd
	v_add_co_ci_u32_e32 v17, vcc_lo, s1, v39, vcc_lo
	s_wait_dscnt 0x1
	v_mul_f32_e32 v43, v145, v10
	v_fmac_f32_e32 v28, v157, v2
	v_cvt_f32_f64_e32 v21, v[24:25]
	v_cvt_f64_f32_e32 v[24:25], v0
	v_fma_f32 v0, v157, v3, -v5
	v_dual_mul_f32 v2, v156, v6 :: v_dual_add_nc_u32 v5, 0x2000, v199
	v_mul_f32_e32 v4, v141, v9
	v_cvt_f64_f32_e32 v[34:35], v1
	s_delay_alu instid0(VALU_DEP_4) | instskip(NEXT) | instid1(VALU_DEP_4)
	v_cvt_f64_f32_e32 v[30:31], v0
	v_fma_f32 v0, v155, v7, -v2
	v_add_nc_u32_e32 v2, 0xc00, v199
	v_cvt_f64_f32_e32 v[28:29], v28
	v_mul_f32_e32 v42, v145, v11
	v_fma_f32 v43, v144, v11, -v43
	v_cvt_f64_f32_e32 v[36:37], v0
	v_add_co_u32 v54, vcc_lo, v16, s2
	s_wait_dscnt 0x0
	v_mul_f32_e32 v45, v150, v14
	ds_load_2addr_b64 v[0:3], v2 offset0:120 offset1:183
	v_mul_f32_e32 v41, v154, v12
	v_fmac_f32_e32 v4, v140, v8
	v_mul_f32_e32 v8, v141, v8
	v_mul_f32_e32 v40, v154, v13
	;; [unrolled: 1-line block ×3, first 2 shown]
	v_fmac_f32_e32 v42, v144, v10
	v_cvt_f64_f32_e32 v[38:39], v4
	ds_load_2addr_b64 v[4:7], v5 offset0:110 offset1:173
	v_mul_f64_e32 v[26:27], s[8:9], v[26:27]
	v_fmac_f32_e32 v44, v149, v14
	v_fma_f32 v14, v149, v15, -v45
	s_wait_alu 0xfffd
	v_add_co_ci_u32_e32 v55, vcc_lo, s3, v17, vcc_lo
	v_add_co_u32 v56, vcc_lo, v54, s0
	s_delay_alu instid0(VALU_DEP_3) | instskip(SKIP_1) | instid1(VALU_DEP_3)
	v_cvt_f64_f32_e32 v[14:15], v14
	s_wait_alu 0xfffd
	v_add_co_ci_u32_e32 v57, vcc_lo, s1, v55, vcc_lo
	s_delay_alu instid0(VALU_DEP_3)
	v_add_co_u32 v58, vcc_lo, v56, s2
	s_wait_dscnt 0x1
	v_mul_f32_e32 v47, v148, v0
	v_mul_f32_e32 v51, v160, v2
	v_fma_f32 v8, v140, v9, -v8
	v_fmac_f32_e32 v40, v153, v12
	v_fma_f32 v12, v153, v13, -v41
	v_mul_f32_e32 v46, v148, v1
	v_mul_f32_e32 v50, v160, v3
	v_cvt_f64_f32_e32 v[8:9], v8
	s_wait_dscnt 0x0
	v_mul_f32_e32 v48, v143, v5
	v_cvt_f64_f32_e32 v[10:11], v40
	v_cvt_f64_f32_e32 v[12:13], v12
	v_mul_f32_e32 v52, v162, v7
	v_mul_f32_e32 v53, v162, v6
	v_fmac_f32_e32 v48, v142, v4
	v_mul_f32_e32 v4, v143, v4
	v_fmac_f32_e32 v46, v147, v0
	v_fma_f32 v47, v147, v1, -v47
	v_fmac_f32_e32 v50, v159, v2
	v_fma_f32 v51, v159, v3, -v51
	v_fma_f32 v4, v142, v5, -v4
	v_fmac_f32_e32 v52, v161, v6
	v_fma_f32 v53, v161, v7, -v53
	v_cvt_f64_f32_e32 v[40:41], v42
	v_cvt_f64_f32_e32 v[42:43], v43
	;; [unrolled: 1-line block ×11, first 2 shown]
	v_mul_f64_e32 v[24:25], s[8:9], v[24:25]
	v_mul_f64_e32 v[28:29], s[8:9], v[28:29]
	;; [unrolled: 1-line block ×6, first 2 shown]
	s_wait_alu 0xfffd
	v_add_co_ci_u32_e32 v59, vcc_lo, s3, v57, vcc_lo
	global_store_b64 v[16:17], v[32:33], off
	global_store_b64 v[54:55], v[18:19], off
	;; [unrolled: 1-line block ×4, first 2 shown]
	v_mul_f64_e32 v[14:15], s[8:9], v[14:15]
	v_mul_f64_e32 v[8:9], s[8:9], v[8:9]
	;; [unrolled: 1-line block ×15, first 2 shown]
	v_cvt_f32_f64_e32 v24, v[24:25]
	v_cvt_f32_f64_e32 v25, v[26:27]
	v_add_co_u32 v26, vcc_lo, v58, s0
	s_wait_alu 0xfffd
	v_add_co_ci_u32_e32 v27, vcc_lo, s1, v59, vcc_lo
	v_cvt_f32_f64_e32 v28, v[28:29]
	v_cvt_f32_f64_e32 v29, v[30:31]
	;; [unrolled: 1-line block ×5, first 2 shown]
	v_add_co_u32 v30, vcc_lo, v26, s2
	v_cvt_f32_f64_e32 v39, v[8:9]
	s_wait_alu 0xfffd
	v_add_co_ci_u32_e32 v31, vcc_lo, s3, v27, vcc_lo
	v_cvt_f32_f64_e32 v8, v[10:11]
	v_cvt_f32_f64_e32 v9, v[12:13]
	v_add_co_u32 v36, vcc_lo, v30, s0
	s_wait_alu 0xfffd
	v_add_co_ci_u32_e32 v37, vcc_lo, s1, v31, vcc_lo
	s_delay_alu instid0(VALU_DEP_2) | instskip(SKIP_1) | instid1(VALU_DEP_2)
	v_add_co_u32 v10, vcc_lo, v36, s2
	s_wait_alu 0xfffd
	v_add_co_ci_u32_e32 v11, vcc_lo, s3, v37, vcc_lo
	v_cvt_f32_f64_e32 v12, v[16:17]
	v_cvt_f32_f64_e32 v13, v[18:19]
	;; [unrolled: 1-line block ×12, first 2 shown]
	v_add_co_u32 v6, vcc_lo, v10, s0
	s_wait_alu 0xfffd
	v_add_co_ci_u32_e32 v7, vcc_lo, s1, v11, vcc_lo
	global_store_b64 v[26:27], v[24:25], off
	v_add_co_u32 v18, vcc_lo, v6, s2
	s_wait_alu 0xfffd
	v_add_co_ci_u32_e32 v19, vcc_lo, s3, v7, vcc_lo
	global_store_b64 v[30:31], v[28:29], off
	;; [unrolled: 4-line block ×7, first 2 shown]
	global_store_b64 v[22:23], v[14:15], off
	global_store_b64 v[10:11], v[16:17], off
	;; [unrolled: 1-line block ×4, first 2 shown]
.LBB0_26:
	s_nop 0
	s_sendmsg sendmsg(MSG_DEALLOC_VGPRS)
	s_endpgm
	.section	.rodata,"a",@progbits
	.p2align	6, 0x0
	.amdhsa_kernel bluestein_single_back_len1260_dim1_sp_op_CI_CI
		.amdhsa_group_segment_fixed_size 10080
		.amdhsa_private_segment_fixed_size 120
		.amdhsa_kernarg_size 104
		.amdhsa_user_sgpr_count 2
		.amdhsa_user_sgpr_dispatch_ptr 0
		.amdhsa_user_sgpr_queue_ptr 0
		.amdhsa_user_sgpr_kernarg_segment_ptr 1
		.amdhsa_user_sgpr_dispatch_id 0
		.amdhsa_user_sgpr_private_segment_size 0
		.amdhsa_wavefront_size32 1
		.amdhsa_uses_dynamic_stack 0
		.amdhsa_enable_private_segment 1
		.amdhsa_system_sgpr_workgroup_id_x 1
		.amdhsa_system_sgpr_workgroup_id_y 0
		.amdhsa_system_sgpr_workgroup_id_z 0
		.amdhsa_system_sgpr_workgroup_info 0
		.amdhsa_system_vgpr_workitem_id 0
		.amdhsa_next_free_vgpr 256
		.amdhsa_next_free_sgpr 20
		.amdhsa_reserve_vcc 1
		.amdhsa_float_round_mode_32 0
		.amdhsa_float_round_mode_16_64 0
		.amdhsa_float_denorm_mode_32 3
		.amdhsa_float_denorm_mode_16_64 3
		.amdhsa_fp16_overflow 0
		.amdhsa_workgroup_processor_mode 1
		.amdhsa_memory_ordered 1
		.amdhsa_forward_progress 0
		.amdhsa_round_robin_scheduling 0
		.amdhsa_exception_fp_ieee_invalid_op 0
		.amdhsa_exception_fp_denorm_src 0
		.amdhsa_exception_fp_ieee_div_zero 0
		.amdhsa_exception_fp_ieee_overflow 0
		.amdhsa_exception_fp_ieee_underflow 0
		.amdhsa_exception_fp_ieee_inexact 0
		.amdhsa_exception_int_div_zero 0
	.end_amdhsa_kernel
	.text
.Lfunc_end0:
	.size	bluestein_single_back_len1260_dim1_sp_op_CI_CI, .Lfunc_end0-bluestein_single_back_len1260_dim1_sp_op_CI_CI
                                        ; -- End function
	.section	.AMDGPU.csdata,"",@progbits
; Kernel info:
; codeLenInByte = 23956
; NumSgprs: 22
; NumVgprs: 256
; ScratchSize: 120
; MemoryBound: 0
; FloatMode: 240
; IeeeMode: 1
; LDSByteSize: 10080 bytes/workgroup (compile time only)
; SGPRBlocks: 2
; VGPRBlocks: 31
; NumSGPRsForWavesPerEU: 22
; NumVGPRsForWavesPerEU: 256
; Occupancy: 5
; WaveLimiterHint : 1
; COMPUTE_PGM_RSRC2:SCRATCH_EN: 1
; COMPUTE_PGM_RSRC2:USER_SGPR: 2
; COMPUTE_PGM_RSRC2:TRAP_HANDLER: 0
; COMPUTE_PGM_RSRC2:TGID_X_EN: 1
; COMPUTE_PGM_RSRC2:TGID_Y_EN: 0
; COMPUTE_PGM_RSRC2:TGID_Z_EN: 0
; COMPUTE_PGM_RSRC2:TIDIG_COMP_CNT: 0
	.text
	.p2alignl 7, 3214868480
	.fill 96, 4, 3214868480
	.type	__hip_cuid_62aba972387569d0,@object ; @__hip_cuid_62aba972387569d0
	.section	.bss,"aw",@nobits
	.globl	__hip_cuid_62aba972387569d0
__hip_cuid_62aba972387569d0:
	.byte	0                               ; 0x0
	.size	__hip_cuid_62aba972387569d0, 1

	.ident	"AMD clang version 19.0.0git (https://github.com/RadeonOpenCompute/llvm-project roc-6.4.0 25133 c7fe45cf4b819c5991fe208aaa96edf142730f1d)"
	.section	".note.GNU-stack","",@progbits
	.addrsig
	.addrsig_sym __hip_cuid_62aba972387569d0
	.amdgpu_metadata
---
amdhsa.kernels:
  - .args:
      - .actual_access:  read_only
        .address_space:  global
        .offset:         0
        .size:           8
        .value_kind:     global_buffer
      - .actual_access:  read_only
        .address_space:  global
        .offset:         8
        .size:           8
        .value_kind:     global_buffer
      - .actual_access:  read_only
        .address_space:  global
        .offset:         16
        .size:           8
        .value_kind:     global_buffer
      - .actual_access:  read_only
        .address_space:  global
        .offset:         24
        .size:           8
        .value_kind:     global_buffer
      - .actual_access:  read_only
        .address_space:  global
        .offset:         32
        .size:           8
        .value_kind:     global_buffer
      - .offset:         40
        .size:           8
        .value_kind:     by_value
      - .address_space:  global
        .offset:         48
        .size:           8
        .value_kind:     global_buffer
      - .address_space:  global
        .offset:         56
        .size:           8
        .value_kind:     global_buffer
      - .address_space:  global
        .offset:         64
        .size:           8
        .value_kind:     global_buffer
      - .address_space:  global
        .offset:         72
        .size:           8
        .value_kind:     global_buffer
      - .offset:         80
        .size:           4
        .value_kind:     by_value
      - .address_space:  global
        .offset:         88
        .size:           8
        .value_kind:     global_buffer
      - .address_space:  global
        .offset:         96
        .size:           8
        .value_kind:     global_buffer
    .group_segment_fixed_size: 10080
    .kernarg_segment_align: 8
    .kernarg_segment_size: 104
    .language:       OpenCL C
    .language_version:
      - 2
      - 0
    .max_flat_workgroup_size: 63
    .name:           bluestein_single_back_len1260_dim1_sp_op_CI_CI
    .private_segment_fixed_size: 120
    .sgpr_count:     22
    .sgpr_spill_count: 0
    .symbol:         bluestein_single_back_len1260_dim1_sp_op_CI_CI.kd
    .uniform_work_group_size: 1
    .uses_dynamic_stack: false
    .vgpr_count:     256
    .vgpr_spill_count: 29
    .wavefront_size: 32
    .workgroup_processor_mode: 1
amdhsa.target:   amdgcn-amd-amdhsa--gfx1201
amdhsa.version:
  - 1
  - 2
...

	.end_amdgpu_metadata
